;; amdgpu-corpus repo=ROCm/rocFFT kind=compiled arch=gfx1030 opt=O3
	.text
	.amdgcn_target "amdgcn-amd-amdhsa--gfx1030"
	.amdhsa_code_object_version 6
	.protected	fft_rtc_fwd_len1224_factors_17_3_4_6_wgs_204_tpt_102_halfLds_dp_op_CI_CI_unitstride_sbrr_C2R_dirReg ; -- Begin function fft_rtc_fwd_len1224_factors_17_3_4_6_wgs_204_tpt_102_halfLds_dp_op_CI_CI_unitstride_sbrr_C2R_dirReg
	.globl	fft_rtc_fwd_len1224_factors_17_3_4_6_wgs_204_tpt_102_halfLds_dp_op_CI_CI_unitstride_sbrr_C2R_dirReg
	.p2align	8
	.type	fft_rtc_fwd_len1224_factors_17_3_4_6_wgs_204_tpt_102_halfLds_dp_op_CI_CI_unitstride_sbrr_C2R_dirReg,@function
fft_rtc_fwd_len1224_factors_17_3_4_6_wgs_204_tpt_102_halfLds_dp_op_CI_CI_unitstride_sbrr_C2R_dirReg: ; @fft_rtc_fwd_len1224_factors_17_3_4_6_wgs_204_tpt_102_halfLds_dp_op_CI_CI_unitstride_sbrr_C2R_dirReg
; %bb.0:
	s_clause 0x2
	s_load_dwordx4 s[12:15], s[4:5], 0x0
	s_load_dwordx4 s[8:11], s[4:5], 0x58
	;; [unrolled: 1-line block ×3, first 2 shown]
	v_mul_u32_u24_e32 v1, 0x283, v0
	v_mov_b32_e32 v3, 0
	v_lshrrev_b32_e32 v7, 16, v1
	v_mov_b32_e32 v1, 0
	v_mov_b32_e32 v6, v3
	v_mov_b32_e32 v2, 0
	v_lshl_add_u32 v5, s6, 1, v7
	s_waitcnt lgkmcnt(0)
	v_cmp_lt_u64_e64 s0, s[14:15], 2
	s_and_b32 vcc_lo, exec_lo, s0
	s_cbranch_vccnz .LBB0_8
; %bb.1:
	s_load_dwordx2 s[0:1], s[4:5], 0x10
	v_mov_b32_e32 v1, 0
	v_mov_b32_e32 v2, 0
	s_add_u32 s2, s18, 8
	s_addc_u32 s3, s19, 0
	s_add_u32 s6, s16, 8
	s_addc_u32 s7, s17, 0
	v_mov_b32_e32 v69, v2
	v_mov_b32_e32 v68, v1
	s_mov_b64 s[22:23], 1
	s_waitcnt lgkmcnt(0)
	s_add_u32 s20, s0, 8
	s_addc_u32 s21, s1, 0
.LBB0_2:                                ; =>This Inner Loop Header: Depth=1
	s_load_dwordx2 s[24:25], s[20:21], 0x0
                                        ; implicit-def: $vgpr72_vgpr73
	s_mov_b32 s0, exec_lo
	s_waitcnt lgkmcnt(0)
	v_or_b32_e32 v4, s25, v6
	v_cmpx_ne_u64_e32 0, v[3:4]
	s_xor_b32 s1, exec_lo, s0
	s_cbranch_execz .LBB0_4
; %bb.3:                                ;   in Loop: Header=BB0_2 Depth=1
	v_cvt_f32_u32_e32 v4, s24
	v_cvt_f32_u32_e32 v8, s25
	s_sub_u32 s0, 0, s24
	s_subb_u32 s26, 0, s25
	v_fmac_f32_e32 v4, 0x4f800000, v8
	v_rcp_f32_e32 v4, v4
	v_mul_f32_e32 v4, 0x5f7ffffc, v4
	v_mul_f32_e32 v8, 0x2f800000, v4
	v_trunc_f32_e32 v8, v8
	v_fmac_f32_e32 v4, 0xcf800000, v8
	v_cvt_u32_f32_e32 v8, v8
	v_cvt_u32_f32_e32 v4, v4
	v_mul_lo_u32 v9, s0, v8
	v_mul_hi_u32 v10, s0, v4
	v_mul_lo_u32 v11, s26, v4
	v_add_nc_u32_e32 v9, v10, v9
	v_mul_lo_u32 v10, s0, v4
	v_add_nc_u32_e32 v9, v9, v11
	v_mul_hi_u32 v11, v4, v10
	v_mul_lo_u32 v12, v4, v9
	v_mul_hi_u32 v13, v4, v9
	v_mul_hi_u32 v14, v8, v10
	v_mul_lo_u32 v10, v8, v10
	v_mul_hi_u32 v15, v8, v9
	v_mul_lo_u32 v9, v8, v9
	v_add_co_u32 v11, vcc_lo, v11, v12
	v_add_co_ci_u32_e32 v12, vcc_lo, 0, v13, vcc_lo
	v_add_co_u32 v10, vcc_lo, v11, v10
	v_add_co_ci_u32_e32 v10, vcc_lo, v12, v14, vcc_lo
	v_add_co_ci_u32_e32 v11, vcc_lo, 0, v15, vcc_lo
	v_add_co_u32 v9, vcc_lo, v10, v9
	v_add_co_ci_u32_e32 v10, vcc_lo, 0, v11, vcc_lo
	v_add_co_u32 v4, vcc_lo, v4, v9
	v_add_co_ci_u32_e32 v8, vcc_lo, v8, v10, vcc_lo
	v_mul_hi_u32 v9, s0, v4
	v_mul_lo_u32 v11, s26, v4
	v_mul_lo_u32 v10, s0, v8
	v_add_nc_u32_e32 v9, v9, v10
	v_mul_lo_u32 v10, s0, v4
	v_add_nc_u32_e32 v9, v9, v11
	v_mul_hi_u32 v11, v4, v10
	v_mul_lo_u32 v12, v4, v9
	v_mul_hi_u32 v13, v4, v9
	v_mul_hi_u32 v14, v8, v10
	v_mul_lo_u32 v10, v8, v10
	v_mul_hi_u32 v15, v8, v9
	v_mul_lo_u32 v9, v8, v9
	v_add_co_u32 v11, vcc_lo, v11, v12
	v_add_co_ci_u32_e32 v12, vcc_lo, 0, v13, vcc_lo
	v_add_co_u32 v10, vcc_lo, v11, v10
	v_add_co_ci_u32_e32 v10, vcc_lo, v12, v14, vcc_lo
	v_add_co_ci_u32_e32 v11, vcc_lo, 0, v15, vcc_lo
	v_add_co_u32 v9, vcc_lo, v10, v9
	v_add_co_ci_u32_e32 v10, vcc_lo, 0, v11, vcc_lo
	v_add_co_u32 v4, vcc_lo, v4, v9
	v_add_co_ci_u32_e32 v12, vcc_lo, v8, v10, vcc_lo
	v_mul_hi_u32 v14, v5, v4
	v_mad_u64_u32 v[10:11], null, v6, v4, 0
	v_mad_u64_u32 v[8:9], null, v5, v12, 0
	v_mad_u64_u32 v[12:13], null, v6, v12, 0
	v_add_co_u32 v4, vcc_lo, v14, v8
	v_add_co_ci_u32_e32 v8, vcc_lo, 0, v9, vcc_lo
	v_add_co_u32 v4, vcc_lo, v4, v10
	v_add_co_ci_u32_e32 v4, vcc_lo, v8, v11, vcc_lo
	v_add_co_ci_u32_e32 v8, vcc_lo, 0, v13, vcc_lo
	v_add_co_u32 v4, vcc_lo, v4, v12
	v_add_co_ci_u32_e32 v10, vcc_lo, 0, v8, vcc_lo
	v_mul_lo_u32 v11, s25, v4
	v_mad_u64_u32 v[8:9], null, s24, v4, 0
	v_mul_lo_u32 v12, s24, v10
	v_sub_co_u32 v8, vcc_lo, v5, v8
	v_add3_u32 v9, v9, v12, v11
	v_sub_nc_u32_e32 v11, v6, v9
	v_subrev_co_ci_u32_e64 v11, s0, s25, v11, vcc_lo
	v_add_co_u32 v12, s0, v4, 2
	v_add_co_ci_u32_e64 v13, s0, 0, v10, s0
	v_sub_co_u32 v14, s0, v8, s24
	v_sub_co_ci_u32_e32 v9, vcc_lo, v6, v9, vcc_lo
	v_subrev_co_ci_u32_e64 v11, s0, 0, v11, s0
	v_cmp_le_u32_e32 vcc_lo, s24, v14
	v_cmp_eq_u32_e64 s0, s25, v9
	v_cndmask_b32_e64 v14, 0, -1, vcc_lo
	v_cmp_le_u32_e32 vcc_lo, s25, v11
	v_cndmask_b32_e64 v15, 0, -1, vcc_lo
	v_cmp_le_u32_e32 vcc_lo, s24, v8
	;; [unrolled: 2-line block ×3, first 2 shown]
	v_cndmask_b32_e64 v16, 0, -1, vcc_lo
	v_cmp_eq_u32_e32 vcc_lo, s25, v11
	v_cndmask_b32_e64 v8, v16, v8, s0
	v_cndmask_b32_e32 v11, v15, v14, vcc_lo
	v_add_co_u32 v14, vcc_lo, v4, 1
	v_add_co_ci_u32_e32 v15, vcc_lo, 0, v10, vcc_lo
	v_cmp_ne_u32_e32 vcc_lo, 0, v11
	v_cndmask_b32_e32 v9, v15, v13, vcc_lo
	v_cndmask_b32_e32 v11, v14, v12, vcc_lo
	v_cmp_ne_u32_e32 vcc_lo, 0, v8
	v_cndmask_b32_e32 v73, v10, v9, vcc_lo
	v_cndmask_b32_e32 v72, v4, v11, vcc_lo
.LBB0_4:                                ;   in Loop: Header=BB0_2 Depth=1
	s_andn2_saveexec_b32 s0, s1
	s_cbranch_execz .LBB0_6
; %bb.5:                                ;   in Loop: Header=BB0_2 Depth=1
	v_cvt_f32_u32_e32 v4, s24
	s_sub_i32 s1, 0, s24
	v_mov_b32_e32 v73, v3
	v_rcp_iflag_f32_e32 v4, v4
	v_mul_f32_e32 v4, 0x4f7ffffe, v4
	v_cvt_u32_f32_e32 v4, v4
	v_mul_lo_u32 v8, s1, v4
	v_mul_hi_u32 v8, v4, v8
	v_add_nc_u32_e32 v4, v4, v8
	v_mul_hi_u32 v4, v5, v4
	v_mul_lo_u32 v8, v4, s24
	v_add_nc_u32_e32 v9, 1, v4
	v_sub_nc_u32_e32 v8, v5, v8
	v_subrev_nc_u32_e32 v10, s24, v8
	v_cmp_le_u32_e32 vcc_lo, s24, v8
	v_cndmask_b32_e32 v8, v8, v10, vcc_lo
	v_cndmask_b32_e32 v4, v4, v9, vcc_lo
	v_cmp_le_u32_e32 vcc_lo, s24, v8
	v_add_nc_u32_e32 v9, 1, v4
	v_cndmask_b32_e32 v72, v4, v9, vcc_lo
.LBB0_6:                                ;   in Loop: Header=BB0_2 Depth=1
	s_or_b32 exec_lo, exec_lo, s0
	v_mul_lo_u32 v4, v73, s24
	v_mul_lo_u32 v10, v72, s25
	s_load_dwordx2 s[0:1], s[6:7], 0x0
	v_mad_u64_u32 v[8:9], null, v72, s24, 0
	s_load_dwordx2 s[24:25], s[2:3], 0x0
	s_add_u32 s22, s22, 1
	s_addc_u32 s23, s23, 0
	s_add_u32 s2, s2, 8
	s_addc_u32 s3, s3, 0
	s_add_u32 s6, s6, 8
	v_add3_u32 v4, v9, v10, v4
	v_sub_co_u32 v5, vcc_lo, v5, v8
	s_addc_u32 s7, s7, 0
	s_add_u32 s20, s20, 8
	v_sub_co_ci_u32_e32 v4, vcc_lo, v6, v4, vcc_lo
	s_addc_u32 s21, s21, 0
	s_waitcnt lgkmcnt(0)
	v_mul_lo_u32 v6, s0, v4
	v_mul_lo_u32 v8, s1, v5
	v_mad_u64_u32 v[1:2], null, s0, v5, v[1:2]
	v_mul_lo_u32 v4, s24, v4
	v_mul_lo_u32 v9, s25, v5
	v_mad_u64_u32 v[68:69], null, s24, v5, v[68:69]
	v_cmp_ge_u64_e64 s0, s[22:23], s[14:15]
	v_add3_u32 v2, v8, v2, v6
	v_add3_u32 v69, v9, v69, v4
	s_and_b32 vcc_lo, exec_lo, s0
	s_cbranch_vccnz .LBB0_9
; %bb.7:                                ;   in Loop: Header=BB0_2 Depth=1
	v_mov_b32_e32 v5, v72
	v_mov_b32_e32 v6, v73
	s_branch .LBB0_2
.LBB0_8:
	v_mov_b32_e32 v69, v2
	v_mov_b32_e32 v73, v6
	;; [unrolled: 1-line block ×4, first 2 shown]
.LBB0_9:
	s_load_dwordx2 s[0:1], s[4:5], 0x28
	v_and_b32_e32 v4, 1, v7
	v_mul_hi_u32 v3, 0x2828283, v0
	s_lshl_b64 s[4:5], s[14:15], 3
                                        ; implicit-def: $vgpr70
	s_add_u32 s2, s18, s4
	s_addc_u32 s3, s19, s5
	s_waitcnt lgkmcnt(0)
	v_cmp_gt_u64_e32 vcc_lo, s[0:1], v[72:73]
	v_cmp_le_u64_e64 s1, s[0:1], v[72:73]
	v_cmp_eq_u32_e64 s0, 1, v4
	s_and_saveexec_b32 s6, s1
	s_xor_b32 s1, exec_lo, s6
; %bb.10:
	v_mul_u32_u24_e32 v1, 0x66, v3
                                        ; implicit-def: $vgpr3
	v_sub_nc_u32_e32 v70, v0, v1
                                        ; implicit-def: $vgpr0
                                        ; implicit-def: $vgpr1_vgpr2
; %bb.11:
	s_or_saveexec_b32 s1, s1
	s_load_dwordx2 s[2:3], s[2:3], 0x0
	v_cndmask_b32_e64 v10, 0, 0x4c9, s0
	v_lshlrev_b32_e32 v108, 4, v10
	s_xor_b32 exec_lo, exec_lo, s1
	s_cbranch_execz .LBB0_15
; %bb.12:
	s_add_u32 s4, s16, s4
	s_addc_u32 s5, s17, s5
	v_lshlrev_b64 v[1:2], 4, v[1:2]
	s_load_dwordx2 s[4:5], s[4:5], 0x0
	s_waitcnt lgkmcnt(0)
	v_mul_lo_u32 v6, s5, v72
	v_mul_lo_u32 v7, s4, v73
	v_mad_u64_u32 v[4:5], null, s4, v72, 0
	s_mov_b32 s4, exec_lo
	v_add3_u32 v5, v5, v7, v6
	v_mul_u32_u24_e32 v6, 0x66, v3
	v_lshlrev_b64 v[3:4], 4, v[4:5]
	v_sub_nc_u32_e32 v70, v0, v6
	v_lshlrev_b32_e32 v9, 4, v70
	v_add_co_u32 v0, s0, s8, v3
	v_add_co_ci_u32_e64 v3, s0, s9, v4, s0
	v_add_co_u32 v0, s0, v0, v1
	v_add_co_ci_u32_e64 v1, s0, v3, v2, s0
	v_add3_u32 v2, 0, v108, v9
	v_add_co_u32 v7, s0, v0, v9
	v_add_co_ci_u32_e64 v8, s0, 0, v1, s0
	s_clause 0x1
	global_load_dwordx4 v[3:6], v[7:8], off
	global_load_dwordx4 v[11:14], v[7:8], off offset:1632
	v_add_co_u32 v15, s0, 0x800, v7
	v_add_co_ci_u32_e64 v16, s0, 0, v8, s0
	v_add_co_u32 v19, s0, 0x1000, v7
	v_add_co_ci_u32_e64 v20, s0, 0, v8, s0
	v_add_co_u32 v27, s0, 0x1800, v7
	v_add_co_ci_u32_e64 v28, s0, 0, v8, s0
	v_add_co_u32 v31, s0, 0x2000, v7
	v_add_co_ci_u32_e64 v32, s0, 0, v8, s0
	v_add_co_u32 v35, s0, 0x2800, v7
	v_add_co_ci_u32_e64 v36, s0, 0, v8, s0
	v_add_co_u32 v39, s0, 0x3000, v7
	v_add_co_ci_u32_e64 v40, s0, 0, v8, s0
	v_add_co_u32 v47, s0, 0x3800, v7
	v_add_co_ci_u32_e64 v48, s0, 0, v8, s0
	v_add_co_u32 v7, s0, 0x4000, v7
	v_add_co_ci_u32_e64 v8, s0, 0, v8, s0
	s_clause 0x9
	global_load_dwordx4 v[15:18], v[15:16], off offset:1216
	global_load_dwordx4 v[19:22], v[19:20], off offset:800
	;; [unrolled: 1-line block ×10, first 2 shown]
	s_waitcnt vmcnt(11)
	ds_write_b128 v2, v[3:6]
	s_waitcnt vmcnt(10)
	ds_write_b128 v2, v[11:14] offset:1632
	s_waitcnt vmcnt(9)
	ds_write_b128 v2, v[15:18] offset:3264
	;; [unrolled: 2-line block ×11, first 2 shown]
	v_cmpx_eq_u32_e32 0x65, v70
	s_cbranch_execz .LBB0_14
; %bb.13:
	v_add_co_u32 v0, s0, 0x4800, v0
	v_add_co_ci_u32_e64 v1, s0, 0, v1, s0
	v_mov_b32_e32 v70, 0x65
	global_load_dwordx4 v[3:6], v[0:1], off offset:1152
	s_waitcnt vmcnt(0)
	ds_write_b128 v2, v[3:6] offset:17968
.LBB0_14:
	s_or_b32 exec_lo, exec_lo, s4
.LBB0_15:
	s_or_b32 exec_lo, exec_lo, s1
	v_lshl_add_u32 v109, v10, 4, 0
	v_lshlrev_b32_e32 v0, 4, v70
	s_waitcnt lgkmcnt(0)
	s_barrier
	buffer_gl0_inv
	s_add_u32 s1, s12, 0x4b70
	v_add_nc_u32_e32 v110, v109, v0
	v_sub_nc_u32_e32 v11, v109, v0
	s_addc_u32 s4, s13, 0
	s_mov_b32 s5, exec_lo
	ds_read_b64 v[6:7], v110
	ds_read_b64 v[8:9], v11 offset:19584
                                        ; implicit-def: $vgpr4_vgpr5
	s_waitcnt lgkmcnt(0)
	v_add_f64 v[0:1], v[6:7], v[8:9]
	v_add_f64 v[2:3], v[6:7], -v[8:9]
	v_cmpx_ne_u32_e32 0, v70
	s_xor_b32 s5, exec_lo, s5
	s_cbranch_execz .LBB0_17
; %bb.16:
	v_mov_b32_e32 v71, 0
	v_add_f64 v[14:15], v[6:7], v[8:9]
	v_add_f64 v[16:17], v[6:7], -v[8:9]
	v_lshlrev_b64 v[0:1], 4, v[70:71]
	v_add_co_u32 v0, s0, s1, v0
	v_add_co_ci_u32_e64 v1, s0, s4, v1, s0
	global_load_dwordx4 v[2:5], v[0:1], off
	ds_read_b64 v[0:1], v11 offset:19592
	ds_read_b64 v[12:13], v110 offset:8
	s_waitcnt lgkmcnt(0)
	v_add_f64 v[6:7], v[0:1], v[12:13]
	v_add_f64 v[0:1], v[12:13], -v[0:1]
	s_waitcnt vmcnt(0)
	v_fma_f64 v[8:9], v[16:17], v[4:5], v[14:15]
	v_fma_f64 v[12:13], -v[16:17], v[4:5], v[14:15]
	v_fma_f64 v[14:15], v[6:7], v[4:5], -v[0:1]
	v_fma_f64 v[4:5], v[6:7], v[4:5], v[0:1]
	v_fma_f64 v[0:1], -v[6:7], v[2:3], v[8:9]
	v_fma_f64 v[6:7], v[6:7], v[2:3], v[12:13]
	v_fma_f64 v[8:9], v[16:17], v[2:3], v[14:15]
	;; [unrolled: 1-line block ×3, first 2 shown]
	v_mov_b32_e32 v4, v70
	v_mov_b32_e32 v5, v71
	ds_write_b128 v11, v[6:9] offset:19584
.LBB0_17:
	s_andn2_saveexec_b32 s0, s5
	s_cbranch_execz .LBB0_19
; %bb.18:
	ds_read_b128 v[4:7], v109 offset:9792
	s_waitcnt lgkmcnt(0)
	v_add_f64 v[12:13], v[4:5], v[4:5]
	v_mul_f64 v[14:15], v[6:7], -2.0
	v_mov_b32_e32 v4, 0
	v_mov_b32_e32 v5, 0
	ds_write_b128 v109, v[12:15] offset:9792
.LBB0_19:
	s_or_b32 exec_lo, exec_lo, s0
	v_lshlrev_b64 v[4:5], 4, v[4:5]
	ds_write_b128 v110, v[0:3]
	v_lshl_add_u32 v111, v70, 4, 0
	s_mov_b32 s33, exec_lo
	v_add_co_u32 v8, s0, s1, v4
	v_add_co_ci_u32_e64 v9, s0, s4, v5, s0
	v_lshl_add_u32 v71, v10, 4, v111
	v_add_co_u32 v12, s0, 0x800, v8
	global_load_dwordx4 v[4:7], v[8:9], off offset:1632
	v_add_co_ci_u32_e64 v13, s0, 0, v9, s0
	v_add_co_u32 v16, s0, 0x1000, v8
	v_add_co_ci_u32_e64 v17, s0, 0, v9, s0
	global_load_dwordx4 v[12:15], v[12:13], off offset:1216
	v_add_co_u32 v28, s0, 0x1800, v8
	global_load_dwordx4 v[16:19], v[16:17], off offset:800
	v_add_co_ci_u32_e64 v29, s0, 0, v9, s0
	ds_read_b128 v[0:3], v110 offset:1632
	ds_read_b128 v[20:23], v11 offset:17952
	global_load_dwordx4 v[24:27], v[28:29], off offset:384
	s_waitcnt lgkmcnt(0)
	v_add_f64 v[8:9], v[0:1], v[20:21]
	v_add_f64 v[30:31], v[22:23], v[2:3]
	v_add_f64 v[20:21], v[0:1], -v[20:21]
	v_add_f64 v[0:1], v[2:3], -v[22:23]
	s_waitcnt vmcnt(3)
	v_fma_f64 v[2:3], v[20:21], v[6:7], v[8:9]
	v_fma_f64 v[22:23], v[30:31], v[6:7], v[0:1]
	v_fma_f64 v[8:9], -v[20:21], v[6:7], v[8:9]
	v_fma_f64 v[32:33], v[30:31], v[6:7], -v[0:1]
	v_fma_f64 v[0:1], -v[30:31], v[4:5], v[2:3]
	v_fma_f64 v[2:3], v[20:21], v[4:5], v[22:23]
	v_fma_f64 v[6:7], v[30:31], v[4:5], v[8:9]
	;; [unrolled: 1-line block ×3, first 2 shown]
	ds_write_b128 v110, v[0:3] offset:1632
	ds_write_b128 v11, v[6:9] offset:17952
	ds_read_b128 v[0:3], v110 offset:3264
	ds_read_b128 v[4:7], v11 offset:16320
	global_load_dwordx4 v[20:23], v[28:29], off offset:2016
	s_waitcnt lgkmcnt(0)
	v_add_f64 v[8:9], v[0:1], v[4:5]
	v_add_f64 v[28:29], v[6:7], v[2:3]
	v_add_f64 v[30:31], v[0:1], -v[4:5]
	v_add_f64 v[0:1], v[2:3], -v[6:7]
	s_waitcnt vmcnt(3)
	v_fma_f64 v[2:3], v[30:31], v[14:15], v[8:9]
	v_fma_f64 v[4:5], v[28:29], v[14:15], v[0:1]
	v_fma_f64 v[6:7], -v[30:31], v[14:15], v[8:9]
	v_fma_f64 v[8:9], v[28:29], v[14:15], -v[0:1]
	v_fma_f64 v[0:1], -v[28:29], v[12:13], v[2:3]
	v_fma_f64 v[2:3], v[30:31], v[12:13], v[4:5]
	v_fma_f64 v[4:5], v[28:29], v[12:13], v[6:7]
	v_fma_f64 v[6:7], v[30:31], v[12:13], v[8:9]
	ds_write_b128 v110, v[0:3] offset:3264
	ds_write_b128 v11, v[4:7] offset:16320
	ds_read_b128 v[0:3], v110 offset:4896
	ds_read_b128 v[4:7], v11 offset:14688
	s_waitcnt lgkmcnt(0)
	v_add_f64 v[8:9], v[0:1], v[4:5]
	v_add_f64 v[12:13], v[6:7], v[2:3]
	v_add_f64 v[14:15], v[0:1], -v[4:5]
	v_add_f64 v[0:1], v[2:3], -v[6:7]
	s_waitcnt vmcnt(2)
	v_fma_f64 v[2:3], v[14:15], v[18:19], v[8:9]
	v_fma_f64 v[4:5], v[12:13], v[18:19], v[0:1]
	v_fma_f64 v[6:7], -v[14:15], v[18:19], v[8:9]
	v_fma_f64 v[8:9], v[12:13], v[18:19], -v[0:1]
	v_fma_f64 v[0:1], -v[12:13], v[16:17], v[2:3]
	v_fma_f64 v[2:3], v[14:15], v[16:17], v[4:5]
	v_fma_f64 v[4:5], v[12:13], v[16:17], v[6:7]
	v_fma_f64 v[6:7], v[14:15], v[16:17], v[8:9]
	ds_write_b128 v110, v[0:3] offset:4896
	ds_write_b128 v11, v[4:7] offset:14688
	ds_read_b128 v[0:3], v110 offset:6528
	ds_read_b128 v[4:7], v11 offset:13056
	;; [unrolled: 18-line block ×3, first 2 shown]
	s_waitcnt lgkmcnt(0)
	v_add_f64 v[8:9], v[0:1], v[4:5]
	v_add_f64 v[12:13], v[6:7], v[2:3]
	v_add_f64 v[14:15], v[0:1], -v[4:5]
	v_add_f64 v[0:1], v[2:3], -v[6:7]
	s_waitcnt vmcnt(0)
	v_fma_f64 v[2:3], v[14:15], v[22:23], v[8:9]
	v_fma_f64 v[4:5], v[12:13], v[22:23], v[0:1]
	v_fma_f64 v[6:7], -v[14:15], v[22:23], v[8:9]
	v_fma_f64 v[8:9], v[12:13], v[22:23], -v[0:1]
	v_fma_f64 v[0:1], -v[12:13], v[20:21], v[2:3]
	v_fma_f64 v[2:3], v[14:15], v[20:21], v[4:5]
	v_fma_f64 v[4:5], v[12:13], v[20:21], v[6:7]
	;; [unrolled: 1-line block ×3, first 2 shown]
	ds_write_b128 v110, v[0:3] offset:8160
	ds_write_b128 v11, v[4:7] offset:11424
	s_waitcnt lgkmcnt(0)
	s_barrier
	buffer_gl0_inv
	s_barrier
	buffer_gl0_inv
	ds_read_b128 v[0:3], v110
	ds_read_b128 v[64:67], v71 offset:1152
	ds_read_b128 v[60:63], v71 offset:2304
	;; [unrolled: 1-line block ×16, first 2 shown]
	s_waitcnt lgkmcnt(0)
	s_barrier
	buffer_gl0_inv
	v_cmpx_gt_u32_e32 0x48, v70
	s_cbranch_execz .LBB0_21
; %bb.20:
	v_add_f64 v[74:75], v[2:3], v[66:67]
	v_add_f64 v[76:77], v[0:1], v[64:65]
	;; [unrolled: 1-line block ×3, first 2 shown]
	v_add_f64 v[98:99], v[66:67], -v[6:7]
	s_mov_b32 s0, 0x7faef3
	s_mov_b32 s4, 0xacd6c6b4
	;; [unrolled: 1-line block ×6, first 2 shown]
	v_add_f64 v[82:83], v[62:63], v[10:11]
	v_add_f64 v[90:91], v[64:65], -v[4:5]
	v_add_f64 v[88:89], v[64:65], v[4:5]
	s_mov_b32 s8, 0x370991
	s_mov_b32 s14, 0x5d8e7cdc
	;; [unrolled: 1-line block ×6, first 2 shown]
	v_add_f64 v[80:81], v[58:59], v[14:15]
	s_mov_b32 s18, 0x910ea3b9
	s_mov_b32 s20, 0x4363dd80
	v_add_f64 v[66:67], v[74:75], v[62:63]
	v_add_f64 v[78:79], v[76:77], v[60:61]
	v_add_f64 v[76:77], v[62:63], -v[10:11]
	v_mul_f64 v[84:85], v[102:103], s[0:1]
	v_mul_f64 v[86:87], v[98:99], s[6:7]
	v_add_f64 v[74:75], v[58:59], -v[14:15]
	v_add_f64 v[62:63], v[60:61], -v[8:9]
	v_add_f64 v[60:61], v[60:61], v[8:9]
	s_mov_b32 s19, 0xbfeb34fa
	s_mov_b32 s21, 0x3fe0d888
	v_mul_f64 v[94:95], v[82:83], s[8:9]
	s_mov_b32 s23, 0xbfe0d888
	s_mov_b32 s22, s20
	v_add_f64 v[64:65], v[54:55], -v[18:19]
	s_mov_b32 s24, 0x75d4884
	s_mov_b32 s34, 0x2a9d6da3
	;; [unrolled: 1-line block ×5, first 2 shown]
	v_mul_f64 v[112:113], v[80:81], s[18:19]
	s_mov_b32 s30, s34
	s_mov_b32 s26, 0x6ed5f1bb
	v_add_f64 v[66:67], v[66:67], v[58:59]
	v_add_f64 v[92:93], v[78:79], v[56:57]
	v_mul_f64 v[96:97], v[76:77], s[16:17]
	v_fma_f64 v[100:101], v[90:91], s[4:5], v[84:85]
	v_fma_f64 v[104:105], v[88:89], s[0:1], v[86:87]
	v_add_f64 v[78:79], v[54:55], v[18:19]
	v_add_f64 v[58:59], v[56:57], -v[12:13]
	v_add_f64 v[56:57], v[56:57], v[12:13]
	v_fma_f64 v[114:115], v[90:91], s[6:7], v[84:85]
	v_mul_f64 v[116:117], v[74:75], s[22:23]
	v_fma_f64 v[118:119], v[88:89], s[0:1], -v[86:87]
	v_fma_f64 v[120:121], v[62:63], s[14:15], v[94:95]
	v_add_f64 v[86:87], v[52:53], -v[16:17]
	v_add_f64 v[84:85], v[52:53], v[16:17]
	v_mul_f64 v[128:129], v[64:65], s[30:31]
	v_fma_f64 v[130:131], v[62:63], s[16:17], v[94:95]
	s_mov_b32 s28, 0x6c9a05f6
	s_mov_b32 s27, 0xbfe348c8
	;; [unrolled: 1-line block ×5, first 2 shown]
	v_add_f64 v[94:95], v[48:49], -v[20:21]
	v_add_f64 v[106:107], v[66:67], v[54:55]
	v_add_f64 v[92:93], v[92:93], v[52:53]
	v_fma_f64 v[122:123], v[60:61], s[8:9], v[96:97]
	v_add_f64 v[100:101], v[2:3], v[100:101]
	v_add_f64 v[104:105], v[0:1], v[104:105]
	;; [unrolled: 1-line block ×3, first 2 shown]
	v_add_f64 v[54:55], v[50:51], -v[22:23]
	v_mul_f64 v[126:127], v[78:79], s[24:25]
	v_add_f64 v[114:115], v[2:3], v[114:115]
	v_fma_f64 v[96:97], v[60:61], s[8:9], -v[96:97]
	v_add_f64 v[118:119], v[0:1], v[118:119]
	v_fma_f64 v[132:133], v[58:59], s[20:21], v[112:113]
	v_fma_f64 v[134:135], v[56:57], s[18:19], v[116:117]
	v_add_f64 v[52:53], v[46:47], v[26:27]
	v_fma_f64 v[112:113], v[58:59], s[22:23], v[112:113]
	v_fma_f64 v[116:117], v[56:57], s[18:19], -v[116:117]
	v_fma_f64 v[136:137], v[84:85], s[24:25], v[128:129]
	s_mov_b32 s36, 0x2b2883cd
	s_mov_b32 s40, 0x7c9e640b
	;; [unrolled: 1-line block ×5, first 2 shown]
	v_add_f64 v[106:107], v[106:107], v[50:51]
	v_add_f64 v[124:125], v[92:93], v[48:49]
	v_add_f64 v[50:51], v[46:47], -v[26:27]
	v_add_f64 v[100:101], v[120:121], v[100:101]
	v_add_f64 v[104:105], v[122:123], v[104:105]
	;; [unrolled: 1-line block ×3, first 2 shown]
	v_mul_f64 v[122:123], v[66:67], s[26:27]
	s_mov_b32 s42, s40
	v_add_f64 v[114:115], v[130:131], v[114:115]
	v_fma_f64 v[130:131], v[86:87], s[34:35], v[126:127]
	v_add_f64 v[118:119], v[96:97], v[118:119]
	v_add_f64 v[48:49], v[42:43], v[30:31]
	;; [unrolled: 1-line block ×3, first 2 shown]
	v_mul_f64 v[138:139], v[52:53], s[36:37]
	v_fma_f64 v[126:127], v[86:87], s[30:31], v[126:127]
	s_mov_b32 s44, 0xc61f0d01
	s_mov_b32 s50, 0x923c349f
	;; [unrolled: 1-line block ×7, first 2 shown]
	v_add_f64 v[106:107], v[106:107], v[46:47]
	v_add_f64 v[120:121], v[124:125], v[44:45]
	v_mul_f64 v[124:125], v[54:55], s[38:39]
	v_add_f64 v[132:133], v[132:133], v[100:101]
	v_add_f64 v[104:105], v[134:135], v[104:105]
	v_add_f64 v[46:47], v[42:43], -v[30:31]
	v_add_f64 v[100:101], v[44:45], -v[24:25]
	v_mul_f64 v[140:141], v[50:51], s[42:43]
	v_add_f64 v[112:113], v[112:113], v[114:115]
	v_fma_f64 v[114:115], v[84:85], s[24:25], -v[128:129]
	v_add_f64 v[116:117], v[116:117], v[118:119]
	v_fma_f64 v[118:119], v[94:95], s[28:29], v[122:123]
	v_add_f64 v[44:45], v[38:39], v[34:35]
	v_fma_f64 v[122:123], v[94:95], s[38:39], v[122:123]
	s_mov_b32 s49, 0x3fb79ee6
	v_mul_f64 v[142:143], v[82:83], s[36:37]
	v_mul_f64 v[144:145], v[102:103], s[26:27]
	s_mov_b32 s52, 0xeb564b22
	s_mov_b32 s53, 0xbfefdd0d
	;; [unrolled: 1-line block ×4, first 2 shown]
	v_mul_f64 v[150:151], v[82:83], s[44:45]
	v_add_f64 v[134:135], v[106:107], v[42:43]
	v_add_f64 v[120:121], v[120:121], v[40:41]
	v_fma_f64 v[128:129], v[92:93], s[26:27], v[124:125]
	v_add_f64 v[130:131], v[130:131], v[132:133]
	v_add_f64 v[132:133], v[136:137], v[104:105]
	v_add_f64 v[42:43], v[38:39], -v[34:35]
	v_add_f64 v[106:107], v[40:41], -v[28:29]
	v_add_f64 v[104:105], v[40:41], v[28:29]
	v_mul_f64 v[136:137], v[46:47], s[46:47]
	v_add_f64 v[112:113], v[126:127], v[112:113]
	v_fma_f64 v[124:125], v[92:93], s[26:27], -v[124:125]
	v_add_f64 v[114:115], v[114:115], v[116:117]
	v_fma_f64 v[116:117], v[100:101], s[40:41], v[138:139]
	v_fma_f64 v[126:127], v[96:97], s[36:37], v[140:141]
	v_add_f64 v[40:41], v[36:37], -v[32:33]
	v_fma_f64 v[138:139], v[100:101], s[42:43], v[138:139]
	v_fma_f64 v[156:157], v[90:91], s[28:29], v[144:145]
	v_mul_f64 v[154:155], v[78:79], s[26:27]
	v_fma_f64 v[144:145], v[90:91], s[38:39], v[144:145]
	v_fma_f64 v[164:165], v[62:63], s[46:47], v[150:151]
	v_add_f64 v[38:39], v[134:135], v[38:39]
	v_add_f64 v[120:121], v[120:121], v[36:37]
	v_mul_f64 v[134:135], v[48:49], s[44:45]
	v_add_f64 v[118:119], v[118:119], v[130:131]
	v_add_f64 v[128:129], v[128:129], v[132:133]
	v_mul_f64 v[130:131], v[102:103], s[18:19]
	v_mul_f64 v[132:133], v[98:99], s[22:23]
	v_add_f64 v[36:37], v[36:37], v[32:33]
	v_fma_f64 v[146:147], v[104:105], s[44:45], v[136:137]
	v_add_f64 v[112:113], v[122:123], v[112:113]
	v_fma_f64 v[122:123], v[96:97], s[36:37], -v[140:141]
	v_add_f64 v[114:115], v[124:125], v[114:115]
	v_mul_f64 v[124:125], v[76:77], s[42:43]
	v_fma_f64 v[136:137], v[104:105], s[44:45], -v[136:137]
	v_add_f64 v[156:157], v[2:3], v[156:157]
	v_add_f64 v[144:145], v[2:3], v[144:145]
	;; [unrolled: 1-line block ×4, first 2 shown]
	v_mul_f64 v[38:39], v[44:45], s[48:49]
	v_fma_f64 v[140:141], v[106:107], s[50:51], v[134:135]
	v_add_f64 v[116:117], v[116:117], v[118:119]
	v_add_f64 v[118:119], v[126:127], v[128:129]
	v_fma_f64 v[148:149], v[90:91], s[20:21], v[130:131]
	v_fma_f64 v[152:153], v[88:89], s[18:19], v[132:133]
	v_mul_f64 v[120:121], v[42:43], s[54:55]
	v_mul_f64 v[126:127], v[80:81], s[48:49]
	;; [unrolled: 1-line block ×3, first 2 shown]
	v_fma_f64 v[130:131], v[90:91], s[22:23], v[130:131]
	v_fma_f64 v[132:133], v[88:89], s[18:19], -v[132:133]
	v_fma_f64 v[134:135], v[106:107], s[46:47], v[134:135]
	v_add_f64 v[112:113], v[138:139], v[112:113]
	v_add_f64 v[114:115], v[122:123], v[114:115]
	v_fma_f64 v[160:161], v[60:61], s[36:37], v[124:125]
	v_mul_f64 v[122:123], v[76:77], s[50:51]
	v_fma_f64 v[124:125], v[60:61], s[36:37], -v[124:125]
	v_add_f64 v[156:157], v[164:165], v[156:157]
	v_mul_f64 v[164:165], v[48:49], s[24:25]
	v_add_f64 v[30:31], v[34:35], v[30:31]
	v_add_f64 v[28:29], v[32:33], v[28:29]
	v_mul_f64 v[32:33], v[98:99], s[38:39]
	v_fma_f64 v[138:139], v[40:41], s[52:53], v[38:39]
	v_add_f64 v[116:117], v[140:141], v[116:117]
	v_add_f64 v[118:119], v[146:147], v[118:119]
	v_fma_f64 v[146:147], v[62:63], s[40:41], v[142:143]
	v_add_f64 v[148:149], v[2:3], v[148:149]
	v_add_f64 v[152:153], v[0:1], v[152:153]
	v_mul_f64 v[34:35], v[64:65], s[28:29]
	v_fma_f64 v[158:159], v[36:37], s[48:49], v[120:121]
	v_mul_f64 v[140:141], v[80:81], s[8:9]
	v_fma_f64 v[142:143], v[62:63], s[42:43], v[142:143]
	v_add_f64 v[130:131], v[2:3], v[130:131]
	v_add_f64 v[132:133], v[0:1], v[132:133]
	;; [unrolled: 1-line block ×4, first 2 shown]
	v_fma_f64 v[38:39], v[40:41], s[54:55], v[38:39]
	v_fma_f64 v[120:121], v[36:37], s[48:49], -v[120:121]
	v_mul_f64 v[134:135], v[66:67], s[8:9]
	v_mul_f64 v[136:137], v[54:55], s[14:15]
	v_add_f64 v[30:31], v[30:31], v[26:27]
	v_add_f64 v[28:29], v[28:29], v[24:25]
	v_fma_f64 v[162:163], v[88:89], s[26:27], v[32:33]
	v_fma_f64 v[32:33], v[88:89], s[26:27], -v[32:33]
	v_add_f64 v[26:27], v[138:139], v[116:117]
	v_mul_f64 v[116:117], v[52:53], s[0:1]
	v_add_f64 v[138:139], v[146:147], v[148:149]
	v_fma_f64 v[146:147], v[58:59], s[54:55], v[126:127]
	v_add_f64 v[148:149], v[160:161], v[152:153]
	v_fma_f64 v[152:153], v[56:57], s[48:49], v[128:129]
	v_add_f64 v[24:25], v[158:159], v[118:119]
	v_mul_f64 v[118:119], v[74:75], s[14:15]
	v_add_f64 v[130:131], v[142:143], v[130:131]
	v_fma_f64 v[142:143], v[60:61], s[44:45], v[122:123]
	v_fma_f64 v[126:127], v[58:59], s[52:53], v[126:127]
	v_add_f64 v[124:125], v[124:125], v[132:133]
	v_mul_f64 v[132:133], v[78:79], s[18:19]
	v_fma_f64 v[128:129], v[56:57], s[48:49], -v[128:129]
	v_fma_f64 v[160:161], v[58:59], s[16:17], v[140:141]
	v_fma_f64 v[140:141], v[58:59], s[14:15], v[140:141]
	v_add_f64 v[30:31], v[30:31], v[22:23]
	v_add_f64 v[28:29], v[28:29], v[20:21]
	;; [unrolled: 1-line block ×5, first 2 shown]
	v_fma_f64 v[112:113], v[86:87], s[38:39], v[154:155]
	v_fma_f64 v[120:121], v[84:85], s[26:27], v[34:35]
	v_mul_f64 v[162:163], v[50:51], s[6:7]
	v_add_f64 v[114:115], v[146:147], v[138:139]
	v_fma_f64 v[146:147], v[62:63], s[50:51], v[150:151]
	v_add_f64 v[138:139], v[152:153], v[148:149]
	v_mul_f64 v[38:39], v[102:103], s[44:45]
	v_mul_f64 v[148:149], v[64:65], s[22:23]
	v_fma_f64 v[150:151], v[56:57], s[8:9], v[118:119]
	v_fma_f64 v[152:153], v[86:87], s[28:29], v[154:155]
	v_add_f64 v[126:127], v[126:127], v[130:131]
	v_mul_f64 v[130:131], v[66:67], s[48:49]
	v_fma_f64 v[34:35], v[84:85], s[26:27], -v[34:35]
	v_add_f64 v[124:125], v[128:129], v[124:125]
	v_add_f64 v[154:155], v[160:161], v[156:157]
	v_fma_f64 v[156:157], v[86:87], s[20:21], v[132:133]
	v_add_f64 v[32:33], v[0:1], v[32:33]
	v_add_f64 v[18:19], v[30:31], v[18:19]
	;; [unrolled: 1-line block ×4, first 2 shown]
	v_fma_f64 v[28:29], v[60:61], s[44:45], -v[122:123]
	v_fma_f64 v[122:123], v[92:93], s[8:9], v[136:137]
	v_mul_f64 v[128:129], v[46:47], s[30:31]
	v_mul_f64 v[30:31], v[82:83], s[18:19]
	;; [unrolled: 1-line block ×3, first 2 shown]
	v_add_f64 v[112:113], v[112:113], v[114:115]
	v_fma_f64 v[114:115], v[94:95], s[16:17], v[134:135]
	v_add_f64 v[120:121], v[120:121], v[138:139]
	v_add_f64 v[138:139], v[146:147], v[144:145]
	v_fma_f64 v[144:145], v[90:91], s[50:51], v[38:39]
	v_mul_f64 v[146:147], v[52:53], s[24:25]
	v_fma_f64 v[134:135], v[94:95], s[14:15], v[134:135]
	v_add_f64 v[126:127], v[152:153], v[126:127]
	v_fma_f64 v[136:137], v[92:93], s[8:9], -v[136:137]
	v_fma_f64 v[118:119], v[56:57], s[8:9], -v[118:119]
	v_add_f64 v[34:35], v[34:35], v[124:125]
	v_fma_f64 v[124:125], v[84:85], s[18:19], v[148:149]
	v_add_f64 v[152:153], v[156:157], v[154:155]
	v_fma_f64 v[154:155], v[94:95], s[52:53], v[130:131]
	v_add_f64 v[14:15], v[18:19], v[14:15]
	v_add_f64 v[12:13], v[16:17], v[12:13]
	;; [unrolled: 1-line block ×4, first 2 shown]
	v_fma_f64 v[28:29], v[100:101], s[4:5], v[116:117]
	v_fma_f64 v[132:133], v[86:87], s[22:23], v[132:133]
	v_mul_f64 v[150:151], v[44:45], s[44:45]
	v_mul_f64 v[16:17], v[80:81], s[24:25]
	;; [unrolled: 1-line block ×3, first 2 shown]
	v_add_f64 v[112:113], v[114:115], v[112:113]
	v_fma_f64 v[114:115], v[96:97], s[0:1], v[162:163]
	v_add_f64 v[120:121], v[122:123], v[120:121]
	v_add_f64 v[138:139], v[140:141], v[138:139]
	v_mul_f64 v[140:141], v[98:99], s[46:47]
	v_fma_f64 v[122:123], v[62:63], s[22:23], v[30:31]
	v_add_f64 v[144:145], v[2:3], v[144:145]
	v_add_f64 v[126:127], v[134:135], v[126:127]
	v_mul_f64 v[134:135], v[50:51], s[34:35]
	v_fma_f64 v[116:117], v[100:101], s[6:7], v[116:117]
	v_add_f64 v[34:35], v[136:137], v[34:35]
	v_fma_f64 v[136:137], v[92:93], s[48:49], v[158:159]
	v_fma_f64 v[156:157], v[96:97], s[0:1], -v[162:163]
	v_add_f64 v[152:153], v[154:155], v[152:153]
	v_fma_f64 v[154:155], v[100:101], s[30:31], v[146:147]
	v_add_f64 v[124:125], v[124:125], v[142:143]
	v_mul_f64 v[142:143], v[48:49], s[0:1]
	v_add_f64 v[10:11], v[14:15], v[10:11]
	v_add_f64 v[8:9], v[12:13], v[8:9]
	v_fma_f64 v[12:13], v[106:107], s[34:35], v[164:165]
	v_add_f64 v[32:33], v[118:119], v[32:33]
	v_mul_f64 v[160:161], v[78:79], s[36:37]
	v_add_f64 v[14:15], v[28:29], v[112:113]
	v_mul_f64 v[112:113], v[46:47], s[6:7]
	v_add_f64 v[114:115], v[114:115], v[120:121]
	v_fma_f64 v[120:121], v[104:105], s[24:25], v[128:129]
	v_fma_f64 v[118:119], v[88:89], s[44:45], v[140:141]
	v_add_f64 v[132:133], v[132:133], v[138:139]
	v_mul_f64 v[138:139], v[76:77], s[20:21]
	v_add_f64 v[122:123], v[122:123], v[144:145]
	v_fma_f64 v[144:145], v[84:85], s[18:19], -v[148:149]
	v_add_f64 v[116:117], v[116:117], v[126:127]
	v_mul_f64 v[126:127], v[102:103], s[48:49]
	v_fma_f64 v[148:149], v[106:107], s[30:31], v[164:165]
	v_fma_f64 v[38:39], v[90:91], s[46:47], v[38:39]
	v_add_f64 v[34:35], v[156:157], v[34:35]
	v_fma_f64 v[156:157], v[58:59], s[34:35], v[16:17]
	v_add_f64 v[124:125], v[136:137], v[124:125]
	;; [unrolled: 2-line block ×3, first 2 shown]
	v_fma_f64 v[154:155], v[40:41], s[50:51], v[150:151]
	v_fma_f64 v[140:141], v[88:89], s[44:45], -v[140:141]
	v_fma_f64 v[128:129], v[104:105], s[24:25], -v[128:129]
	v_mul_f64 v[164:165], v[74:75], s[30:31]
	v_add_f64 v[12:13], v[12:13], v[14:15]
	v_fma_f64 v[14:15], v[36:37], s[44:45], v[18:19]
	v_mul_f64 v[28:29], v[44:45], s[36:37]
	v_add_f64 v[114:115], v[120:121], v[114:115]
	v_fma_f64 v[120:121], v[106:107], s[4:5], v[142:143]
	v_add_f64 v[118:119], v[0:1], v[118:119]
	v_fma_f64 v[162:163], v[60:61], s[18:19], v[138:139]
	v_add_f64 v[6:7], v[10:11], v[6:7]
	v_add_f64 v[4:5], v[8:9], v[4:5]
	v_fma_f64 v[130:131], v[94:95], s[54:55], v[130:131]
	v_fma_f64 v[158:159], v[92:93], s[48:49], -v[158:159]
	v_add_f64 v[32:33], v[144:145], v[32:33]
	v_add_f64 v[116:117], v[148:149], v[116:117]
	v_fma_f64 v[144:145], v[40:41], s[46:47], v[150:151]
	v_fma_f64 v[148:149], v[62:63], s[20:21], v[30:31]
	v_add_f64 v[38:39], v[2:3], v[38:39]
	v_add_f64 v[124:125], v[136:137], v[124:125]
	v_fma_f64 v[136:137], v[104:105], s[0:1], v[112:113]
	v_mul_f64 v[30:31], v[42:43], s[42:43]
	v_fma_f64 v[138:139], v[60:61], s[18:19], -v[138:139]
	v_add_f64 v[140:141], v[0:1], v[140:141]
	v_add_f64 v[122:123], v[156:157], v[122:123]
	v_fma_f64 v[150:151], v[90:91], s[54:55], v[126:127]
	v_mul_f64 v[156:157], v[82:83], s[0:1]
	v_add_f64 v[34:35], v[128:129], v[34:35]
	v_fma_f64 v[18:19], v[36:37], s[44:45], -v[18:19]
	v_mul_f64 v[128:129], v[98:99], s[52:53]
	v_add_f64 v[10:11], v[154:155], v[12:13]
	v_add_f64 v[8:9], v[14:15], v[114:115]
	v_fma_f64 v[114:115], v[86:87], s[42:43], v[160:161]
	v_add_f64 v[118:119], v[162:163], v[118:119]
	v_fma_f64 v[154:155], v[56:57], s[24:25], v[164:165]
	v_mul_f64 v[162:163], v[64:65], s[40:41]
	v_add_f64 v[120:121], v[120:121], v[152:153]
	v_mul_f64 v[152:153], v[66:67], s[0:1]
	v_add_f64 v[130:131], v[130:131], v[132:133]
	v_fma_f64 v[132:133], v[40:41], s[40:41], v[28:29]
	v_add_f64 v[38:39], v[148:149], v[38:39]
	v_fma_f64 v[16:17], v[58:59], s[30:31], v[16:17]
	v_add_f64 v[14:15], v[144:145], v[116:117]
	v_add_f64 v[116:117], v[136:137], v[124:125]
	v_fma_f64 v[124:125], v[36:37], s[36:37], v[30:31]
	v_add_f64 v[136:137], v[138:139], v[140:141]
	v_fma_f64 v[138:139], v[56:57], s[24:25], -v[164:165]
	v_add_f64 v[140:141], v[2:3], v[150:151]
	v_fma_f64 v[144:145], v[62:63], s[4:5], v[156:157]
	v_mul_f64 v[148:149], v[80:81], s[44:45]
	v_add_f64 v[12:13], v[18:19], v[34:35]
	v_fma_f64 v[34:35], v[88:89], s[48:49], v[128:129]
	v_mul_f64 v[150:151], v[76:77], s[6:7]
	v_fma_f64 v[146:147], v[100:101], s[34:35], v[146:147]
	v_add_f64 v[32:33], v[158:159], v[32:33]
	v_mul_f64 v[158:159], v[54:55], s[6:7]
	v_add_f64 v[118:119], v[154:155], v[118:119]
	v_fma_f64 v[154:155], v[84:85], s[36:37], v[162:163]
	v_add_f64 v[114:115], v[114:115], v[122:123]
	v_fma_f64 v[122:123], v[94:95], s[4:5], v[152:153]
	v_mul_f64 v[164:165], v[52:53], s[48:49]
	v_fma_f64 v[134:135], v[96:97], s[24:25], -v[134:135]
	v_fma_f64 v[160:161], v[86:87], s[40:41], v[160:161]
	v_add_f64 v[38:39], v[16:17], v[38:39]
	v_add_f64 v[18:19], v[132:133], v[120:121]
	v_fma_f64 v[120:121], v[84:85], s[36:37], -v[162:163]
	v_add_f64 v[16:17], v[124:125], v[116:117]
	v_fma_f64 v[142:143], v[106:107], s[6:7], v[142:143]
	v_add_f64 v[116:117], v[138:139], v[136:137]
	v_mul_f64 v[136:137], v[78:79], s[8:9]
	v_add_f64 v[124:125], v[144:145], v[140:141]
	v_fma_f64 v[132:133], v[58:59], s[46:47], v[148:149]
	v_mul_f64 v[140:141], v[74:75], s[50:51]
	v_add_f64 v[34:35], v[0:1], v[34:35]
	v_fma_f64 v[138:139], v[60:61], s[0:1], v[150:151]
	v_add_f64 v[130:131], v[146:147], v[130:131]
	v_fma_f64 v[126:127], v[90:91], s[52:53], v[126:127]
	v_fma_f64 v[144:145], v[92:93], s[0:1], v[158:159]
	v_mul_f64 v[146:147], v[50:51], s[54:55]
	v_add_f64 v[118:119], v[154:155], v[118:119]
	v_fma_f64 v[128:129], v[88:89], s[48:49], -v[128:129]
	v_add_f64 v[114:115], v[122:123], v[114:115]
	v_fma_f64 v[122:123], v[100:101], s[52:53], v[164:165]
	v_fma_f64 v[152:153], v[94:95], s[6:7], v[152:153]
	v_mul_f64 v[154:155], v[48:49], s[8:9]
	v_add_f64 v[38:39], v[160:161], v[38:39]
	v_add_f64 v[32:33], v[134:135], v[32:33]
	v_mul_f64 v[134:135], v[66:67], s[36:37]
	v_fma_f64 v[156:157], v[62:63], s[6:7], v[156:157]
	v_fma_f64 v[150:151], v[60:61], s[0:1], -v[150:151]
	v_add_f64 v[116:117], v[120:121], v[116:117]
	v_fma_f64 v[120:121], v[92:93], s[0:1], -v[158:159]
	v_mul_f64 v[158:159], v[64:65], s[16:17]
	v_add_f64 v[124:125], v[132:133], v[124:125]
	v_fma_f64 v[132:133], v[86:87], s[14:15], v[136:137]
	v_fma_f64 v[112:113], v[104:105], s[0:1], -v[112:113]
	v_add_f64 v[34:35], v[138:139], v[34:35]
	v_fma_f64 v[138:139], v[56:57], s[44:45], v[140:141]
	v_add_f64 v[126:127], v[2:3], v[126:127]
	v_add_f64 v[130:131], v[142:143], v[130:131]
	v_fma_f64 v[142:143], v[96:97], s[48:49], v[146:147]
	v_add_f64 v[118:119], v[144:145], v[118:119]
	v_mul_f64 v[144:145], v[46:47], s[14:15]
	v_add_f64 v[128:129], v[0:1], v[128:129]
	v_add_f64 v[114:115], v[122:123], v[114:115]
	v_mul_f64 v[122:123], v[102:103], s[36:37]
	v_fma_f64 v[160:161], v[100:101], s[54:55], v[164:165]
	v_add_f64 v[38:39], v[152:153], v[38:39]
	v_fma_f64 v[152:153], v[106:107], s[16:17], v[154:155]
	v_fma_f64 v[148:149], v[58:59], s[50:51], v[148:149]
	v_fma_f64 v[140:141], v[56:57], s[44:45], -v[140:141]
	v_fma_f64 v[136:137], v[86:87], s[16:17], v[136:137]
	v_fma_f64 v[28:29], v[40:41], s[42:43], v[28:29]
	v_add_f64 v[116:117], v[120:121], v[116:117]
	v_fma_f64 v[120:121], v[96:97], s[48:49], -v[146:147]
	v_mul_f64 v[146:147], v[52:53], s[18:19]
	v_add_f64 v[124:125], v[132:133], v[124:125]
	v_fma_f64 v[132:133], v[94:95], s[42:43], v[134:135]
	v_fma_f64 v[162:163], v[84:85], s[8:9], v[158:159]
	v_add_f64 v[138:139], v[138:139], v[34:35]
	v_add_f64 v[126:127], v[156:157], v[126:127]
	v_mul_f64 v[156:157], v[54:55], s[40:41]
	v_add_f64 v[34:35], v[112:113], v[32:33]
	v_add_f64 v[118:119], v[142:143], v[118:119]
	v_fma_f64 v[142:143], v[104:105], s[8:9], v[144:145]
	v_add_f64 v[128:129], v[150:151], v[128:129]
	v_mul_f64 v[150:151], v[82:83], s[26:27]
	v_fma_f64 v[112:113], v[90:91], s[42:43], v[122:123]
	v_fma_f64 v[122:123], v[90:91], s[40:41], v[122:123]
	v_add_f64 v[38:39], v[160:161], v[38:39]
	v_add_f64 v[32:33], v[152:153], v[114:115]
	v_mul_f64 v[114:115], v[98:99], s[40:41]
	v_fma_f64 v[152:153], v[106:107], s[14:15], v[154:155]
	v_mul_f64 v[154:155], v[80:81], s[0:1]
	v_mul_f64 v[160:161], v[76:77], s[38:39]
	v_fma_f64 v[134:135], v[94:95], s[40:41], v[134:135]
	v_add_f64 v[116:117], v[120:121], v[116:117]
	v_fma_f64 v[144:145], v[104:105], s[8:9], -v[144:145]
	v_fma_f64 v[30:31], v[36:37], s[36:37], -v[30:31]
	v_add_f64 v[120:121], v[132:133], v[124:125]
	v_fma_f64 v[124:125], v[100:101], s[20:21], v[146:147]
	v_add_f64 v[132:133], v[162:163], v[138:139]
	v_add_f64 v[126:127], v[148:149], v[126:127]
	v_fma_f64 v[138:139], v[92:93], s[36:37], v[156:157]
	v_mul_f64 v[148:149], v[50:51], s[22:23]
	v_fma_f64 v[146:147], v[100:101], s[22:23], v[146:147]
	v_add_f64 v[118:119], v[142:143], v[118:119]
	v_add_f64 v[128:129], v[140:141], v[128:129]
	v_fma_f64 v[140:141], v[84:85], s[8:9], -v[158:159]
	v_add_f64 v[112:113], v[2:3], v[112:113]
	v_fma_f64 v[142:143], v[62:63], s[28:29], v[150:151]
	v_fma_f64 v[150:151], v[62:63], s[38:39], v[150:151]
	v_add_f64 v[122:123], v[2:3], v[122:123]
	v_fma_f64 v[158:159], v[88:89], s[36:37], v[114:115]
	v_fma_f64 v[114:115], v[88:89], s[36:37], -v[114:115]
	v_add_f64 v[38:39], v[152:153], v[38:39]
	v_mul_f64 v[152:153], v[78:79], s[44:45]
	v_add_f64 v[116:117], v[144:145], v[116:117]
	v_mul_f64 v[144:145], v[98:99], s[34:35]
	v_mul_f64 v[98:99], v[98:99], s[14:15]
	v_add_f64 v[120:121], v[124:125], v[120:121]
	v_mul_f64 v[124:125], v[48:49], s[26:27]
	v_add_f64 v[126:127], v[136:137], v[126:127]
	v_add_f64 v[132:133], v[138:139], v[132:133]
	v_fma_f64 v[138:139], v[96:97], s[18:19], v[148:149]
	v_mul_f64 v[136:137], v[46:47], s[28:29]
	v_fma_f64 v[148:149], v[96:97], s[18:19], -v[148:149]
	v_add_f64 v[128:129], v[140:141], v[128:129]
	v_fma_f64 v[140:141], v[92:93], s[36:37], -v[156:157]
	v_add_f64 v[112:113], v[142:143], v[112:113]
	v_fma_f64 v[142:143], v[58:59], s[6:7], v[154:155]
	v_add_f64 v[122:123], v[150:151], v[122:123]
	v_add_f64 v[156:157], v[0:1], v[158:159]
	v_fma_f64 v[158:159], v[60:61], s[26:27], v[160:161]
	v_mul_f64 v[150:151], v[74:75], s[4:5]
	v_fma_f64 v[154:155], v[58:59], s[4:5], v[154:155]
	v_fma_f64 v[160:161], v[60:61], s[26:27], -v[160:161]
	v_add_f64 v[114:115], v[0:1], v[114:115]
	v_add_f64 v[126:127], v[134:135], v[126:127]
	;; [unrolled: 1-line block ×3, first 2 shown]
	v_fma_f64 v[138:139], v[106:107], s[38:39], v[124:125]
	v_fma_f64 v[134:135], v[104:105], s[26:27], v[136:137]
	;; [unrolled: 1-line block ×3, first 2 shown]
	v_add_f64 v[128:129], v[140:141], v[128:129]
	v_fma_f64 v[140:141], v[86:87], s[46:47], v[152:153]
	v_add_f64 v[112:113], v[142:143], v[112:113]
	v_mul_f64 v[142:143], v[66:67], s[24:25]
	v_fma_f64 v[152:153], v[86:87], s[50:51], v[152:153]
	v_add_f64 v[156:157], v[158:159], v[156:157]
	v_fma_f64 v[158:159], v[56:57], s[0:1], v[150:151]
	v_add_f64 v[122:123], v[154:155], v[122:123]
	v_mul_f64 v[154:155], v[64:65], s[50:51]
	v_add_f64 v[114:115], v[160:161], v[114:115]
	v_mul_f64 v[160:161], v[102:103], s[24:25]
	v_fma_f64 v[150:151], v[56:57], s[0:1], -v[150:151]
	v_mul_f64 v[102:103], v[102:103], s[8:9]
	v_add_f64 v[126:127], v[146:147], v[126:127]
	v_add_f64 v[120:121], v[138:139], v[120:121]
	;; [unrolled: 1-line block ×3, first 2 shown]
	v_mul_f64 v[138:139], v[52:53], s[8:9]
	v_add_f64 v[128:129], v[148:149], v[128:129]
	v_mul_f64 v[148:149], v[54:55], s[30:31]
	v_add_f64 v[112:113], v[140:141], v[112:113]
	v_fma_f64 v[134:135], v[94:95], s[34:35], v[142:143]
	v_fma_f64 v[142:143], v[94:95], s[30:31], v[142:143]
	v_add_f64 v[140:141], v[158:159], v[156:157]
	v_add_f64 v[122:123], v[152:153], v[122:123]
	v_fma_f64 v[146:147], v[84:85], s[44:45], v[154:155]
	v_mul_f64 v[156:157], v[82:83], s[48:49]
	v_fma_f64 v[152:153], v[90:91], s[30:31], v[160:161]
	v_add_f64 v[114:115], v[150:151], v[114:115]
	v_fma_f64 v[150:151], v[84:85], s[44:45], -v[154:155]
	v_fma_f64 v[154:155], v[88:89], s[24:25], v[144:145]
	v_fma_f64 v[158:159], v[90:91], s[34:35], v[160:161]
	v_fma_f64 v[144:145], v[88:89], s[24:25], -v[144:145]
	v_fma_f64 v[160:161], v[90:91], s[16:17], v[102:103]
	v_fma_f64 v[90:91], v[90:91], s[14:15], v[102:103]
	;; [unrolled: 1-line block ×3, first 2 shown]
	v_fma_f64 v[88:89], v[88:89], s[8:9], -v[98:99]
	v_mul_f64 v[98:99], v[76:77], s[52:53]
	v_mul_f64 v[82:83], v[82:83], s[24:25]
	v_add_f64 v[124:125], v[124:125], v[126:127]
	v_fma_f64 v[126:127], v[100:101], s[16:17], v[138:139]
	v_mul_f64 v[76:77], v[76:77], s[34:35]
	v_add_f64 v[112:113], v[134:135], v[112:113]
	v_fma_f64 v[134:135], v[104:105], s[26:27], -v[136:137]
	v_fma_f64 v[138:139], v[100:101], s[14:15], v[138:139]
	v_add_f64 v[122:123], v[142:143], v[122:123]
	v_add_f64 v[136:137], v[146:147], v[140:141]
	v_fma_f64 v[146:147], v[62:63], s[54:55], v[156:157]
	v_add_f64 v[140:141], v[2:3], v[152:153]
	v_mul_f64 v[152:153], v[80:81], s[26:27]
	v_fma_f64 v[142:143], v[92:93], s[24:25], v[148:149]
	v_add_f64 v[114:115], v[150:151], v[114:115]
	v_add_f64 v[150:151], v[0:1], v[154:155]
	v_fma_f64 v[154:155], v[62:63], s[52:53], v[156:157]
	v_add_f64 v[156:157], v[2:3], v[158:159]
	v_add_f64 v[144:145], v[0:1], v[144:145]
	;; [unrolled: 1-line block ×4, first 2 shown]
	v_fma_f64 v[158:159], v[60:61], s[48:49], -v[98:99]
	v_add_f64 v[2:3], v[2:3], v[90:91]
	v_add_f64 v[0:1], v[0:1], v[88:89]
	v_mul_f64 v[88:89], v[74:75], s[38:39]
	v_fma_f64 v[90:91], v[62:63], s[34:35], v[82:83]
	v_mul_f64 v[80:81], v[80:81], s[36:37]
	v_add_f64 v[112:113], v[126:127], v[112:113]
	v_fma_f64 v[126:127], v[60:61], s[24:25], -v[76:77]
	v_mul_f64 v[74:75], v[74:75], s[40:41]
	v_fma_f64 v[98:99], v[60:61], s[48:49], v[98:99]
	v_fma_f64 v[62:63], v[62:63], s[30:31], v[82:83]
	;; [unrolled: 1-line block ×3, first 2 shown]
	v_fma_f64 v[148:149], v[92:93], s[24:25], -v[148:149]
	v_add_f64 v[140:141], v[146:147], v[140:141]
	v_fma_f64 v[146:147], v[58:59], s[28:29], v[152:153]
	v_add_f64 v[136:137], v[142:143], v[136:137]
	v_mul_f64 v[142:143], v[78:79], s[0:1]
	v_fma_f64 v[152:153], v[58:59], s[38:39], v[152:153]
	v_add_f64 v[154:155], v[154:155], v[156:157]
	v_mul_f64 v[156:157], v[64:65], s[6:7]
	v_mul_f64 v[78:79], v[78:79], s[48:49]
	;; [unrolled: 1-line block ×3, first 2 shown]
	v_add_f64 v[144:145], v[158:159], v[144:145]
	v_add_f64 v[122:123], v[138:139], v[122:123]
	v_add_f64 v[128:129], v[134:135], v[128:129]
	v_fma_f64 v[158:159], v[56:57], s[26:27], -v[88:89]
	v_add_f64 v[90:91], v[90:91], v[2:3]
	v_fma_f64 v[162:163], v[58:59], s[40:41], v[80:81]
	v_add_f64 v[2:3], v[28:29], v[130:131]
	v_add_f64 v[0:1], v[126:127], v[0:1]
	v_fma_f64 v[76:77], v[56:57], s[36:37], -v[74:75]
	v_add_f64 v[28:29], v[98:99], v[150:151]
	v_fma_f64 v[88:89], v[56:57], s[26:27], v[88:89]
	v_fma_f64 v[58:59], v[58:59], s[42:43], v[80:81]
	v_add_f64 v[62:63], v[62:63], v[160:161]
	v_fma_f64 v[56:57], v[56:57], s[36:37], v[74:75]
	v_add_f64 v[60:61], v[60:61], v[102:103]
	v_add_f64 v[114:115], v[148:149], v[114:115]
	;; [unrolled: 1-line block ×3, first 2 shown]
	v_fma_f64 v[126:127], v[86:87], s[4:5], v[142:143]
	v_add_f64 v[130:131], v[152:153], v[154:155]
	v_mul_f64 v[140:141], v[66:67], s[18:19]
	v_fma_f64 v[142:143], v[86:87], s[6:7], v[142:143]
	v_fma_f64 v[146:147], v[84:85], s[0:1], -v[156:157]
	v_mul_f64 v[148:149], v[54:55], s[20:21]
	v_fma_f64 v[80:81], v[86:87], s[52:53], v[78:79]
	v_mul_f64 v[66:67], v[66:67], s[44:45]
	v_add_f64 v[144:145], v[158:159], v[144:145]
	v_mul_f64 v[54:55], v[54:55], s[46:47]
	v_add_f64 v[90:91], v[162:163], v[90:91]
	v_fma_f64 v[152:153], v[84:85], s[0:1], v[156:157]
	v_fma_f64 v[78:79], v[86:87], s[54:55], v[78:79]
	v_add_f64 v[0:1], v[76:77], v[0:1]
	v_fma_f64 v[76:77], v[84:85], s[48:49], -v[64:65]
	v_add_f64 v[28:29], v[88:89], v[28:29]
	v_fma_f64 v[64:65], v[84:85], s[48:49], v[64:65]
	v_add_f64 v[58:59], v[58:59], v[62:63]
	v_mul_f64 v[88:89], v[50:51], s[14:15]
	v_add_f64 v[56:57], v[56:57], v[60:61]
	v_mul_f64 v[86:87], v[50:51], s[50:51]
	v_mul_f64 v[50:51], v[50:51], s[38:39]
	v_add_f64 v[126:127], v[126:127], v[138:139]
	v_mul_f64 v[62:63], v[48:49], s[48:49]
	v_mul_f64 v[134:135], v[44:45], s[26:27]
	v_add_f64 v[130:131], v[142:143], v[130:131]
	v_fma_f64 v[142:143], v[94:95], s[20:21], v[140:141]
	v_fma_f64 v[140:141], v[94:95], s[22:23], v[140:141]
	v_mul_f64 v[74:75], v[44:45], s[24:25]
	v_mul_f64 v[82:83], v[42:43], s[38:39]
	v_add_f64 v[138:139], v[146:147], v[144:145]
	v_fma_f64 v[144:145], v[92:93], s[18:19], -v[148:149]
	v_mul_f64 v[146:147], v[52:53], s[44:45]
	v_add_f64 v[80:81], v[80:81], v[90:91]
	v_fma_f64 v[90:91], v[94:95], s[46:47], v[66:67]
	v_mul_f64 v[52:53], v[52:53], s[26:27]
	v_add_f64 v[0:1], v[76:77], v[0:1]
	v_fma_f64 v[76:77], v[92:93], s[44:45], -v[54:55]
	v_add_f64 v[28:29], v[152:153], v[28:29]
	v_fma_f64 v[148:149], v[92:93], s[18:19], v[148:149]
	v_fma_f64 v[66:67], v[94:95], s[50:51], v[66:67]
	v_add_f64 v[58:59], v[78:79], v[58:59]
	v_fma_f64 v[54:55], v[92:93], s[44:45], v[54:55]
	v_add_f64 v[56:57], v[64:65], v[56:57]
	v_fma_f64 v[152:153], v[96:97], s[8:9], -v[88:89]
	v_mul_f64 v[92:93], v[46:47], s[42:43]
	v_fma_f64 v[94:95], v[96:97], s[44:45], -v[86:87]
	v_fma_f64 v[88:89], v[96:97], s[8:9], v[88:89]
	v_add_f64 v[130:131], v[142:143], v[130:131]
	v_mul_f64 v[142:143], v[46:47], s[52:53]
	v_mul_f64 v[46:47], v[46:47], s[22:23]
	v_fma_f64 v[78:79], v[106:107], s[54:55], v[62:63]
	v_fma_f64 v[62:63], v[106:107], s[52:53], v[62:63]
	v_add_f64 v[138:139], v[144:145], v[138:139]
	v_mul_f64 v[144:145], v[48:49], s[36:37]
	v_mul_f64 v[48:49], v[48:49], s[18:19]
	v_add_f64 v[80:81], v[90:91], v[80:81]
	v_fma_f64 v[90:91], v[100:101], s[50:51], v[146:147]
	v_fma_f64 v[64:65], v[100:101], s[38:39], v[52:53]
	v_add_f64 v[0:1], v[76:77], v[0:1]
	v_fma_f64 v[76:77], v[96:97], s[26:27], -v[50:51]
	v_add_f64 v[126:127], v[140:141], v[126:127]
	v_fma_f64 v[146:147], v[100:101], s[46:47], v[146:147]
	v_add_f64 v[28:29], v[148:149], v[28:29]
	v_fma_f64 v[86:87], v[96:97], s[44:45], v[86:87]
	v_fma_f64 v[52:53], v[100:101], s[28:29], v[52:53]
	v_add_f64 v[58:59], v[66:67], v[58:59]
	v_fma_f64 v[50:51], v[96:97], s[26:27], v[50:51]
	v_add_f64 v[54:55], v[54:55], v[56:57]
	v_add_f64 v[114:115], v[152:153], v[114:115]
	v_mul_f64 v[152:153], v[44:45], s[18:19]
	v_mul_f64 v[148:149], v[44:45], s[8:9]
	;; [unrolled: 1-line block ×3, first 2 shown]
	v_fma_f64 v[56:57], v[104:105], s[36:37], -v[92:93]
	v_mul_f64 v[96:97], v[42:43], s[16:17]
	v_add_f64 v[94:95], v[94:95], v[138:139]
	v_mul_f64 v[102:103], v[42:43], s[30:31]
	v_fma_f64 v[66:67], v[106:107], s[22:23], v[48:49]
	v_fma_f64 v[140:141], v[104:105], s[48:49], -v[142:143]
	v_add_f64 v[90:91], v[90:91], v[130:131]
	v_fma_f64 v[130:131], v[106:107], s[42:43], v[144:145]
	v_add_f64 v[64:65], v[64:65], v[80:81]
	v_add_f64 v[0:1], v[76:77], v[0:1]
	v_fma_f64 v[76:77], v[104:105], s[18:19], -v[46:47]
	v_mul_f64 v[80:81], v[42:43], s[6:7]
	v_mul_f64 v[42:43], v[42:43], s[22:23]
	v_add_f64 v[88:89], v[88:89], v[136:137]
	v_fma_f64 v[100:101], v[104:105], s[48:49], v[142:143]
	v_add_f64 v[62:63], v[62:63], v[122:123]
	v_add_f64 v[122:123], v[146:147], v[126:127]
	v_fma_f64 v[126:127], v[106:107], s[40:41], v[144:145]
	v_add_f64 v[28:29], v[86:87], v[28:29]
	v_fma_f64 v[86:87], v[104:105], s[36:37], v[92:93]
	v_fma_f64 v[48:49], v[106:107], s[20:21], v[48:49]
	v_add_f64 v[52:53], v[52:53], v[58:59]
	v_fma_f64 v[46:47], v[104:105], s[18:19], v[46:47]
	v_add_f64 v[50:51], v[50:51], v[54:55]
	v_add_f64 v[56:57], v[56:57], v[94:95]
	v_fma_f64 v[58:59], v[40:41], s[16:17], v[148:149]
	v_fma_f64 v[94:95], v[36:37], s[8:9], -v[96:97]
	v_fma_f64 v[98:99], v[40:41], s[28:29], v[134:135]
	v_fma_f64 v[134:135], v[40:41], s[38:39], v[134:135]
	v_add_f64 v[54:55], v[130:131], v[90:91]
	v_add_f64 v[64:65], v[66:67], v[64:65]
	;; [unrolled: 1-line block ×4, first 2 shown]
	v_fma_f64 v[76:77], v[40:41], s[6:7], v[44:45]
	v_fma_f64 v[90:91], v[36:37], s[0:1], -v[80:81]
	v_fma_f64 v[114:115], v[40:41], s[22:23], v[152:153]
	v_fma_f64 v[104:105], v[36:37], s[18:19], -v[42:43]
	v_fma_f64 v[84:85], v[40:41], s[34:35], v[74:75]
	v_fma_f64 v[60:61], v[36:37], s[24:25], v[102:103]
	;; [unrolled: 1-line block ×3, first 2 shown]
	v_fma_f64 v[102:103], v[36:37], s[24:25], -v[102:103]
	v_fma_f64 v[150:151], v[36:37], s[26:27], v[82:83]
	v_fma_f64 v[82:83], v[36:37], s[26:27], -v[82:83]
	v_add_f64 v[78:79], v[78:79], v[112:113]
	v_add_f64 v[88:89], v[100:101], v[88:89]
	v_fma_f64 v[100:101], v[40:41], s[20:21], v[152:153]
	v_fma_f64 v[106:107], v[36:37], s[18:19], v[42:43]
	v_add_f64 v[112:113], v[126:127], v[122:123]
	v_add_f64 v[86:87], v[86:87], v[28:29]
	v_fma_f64 v[122:123], v[40:41], s[14:15], v[148:149]
	v_fma_f64 v[96:97], v[36:37], s[8:9], v[96:97]
	;; [unrolled: 1-line block ×3, first 2 shown]
	v_add_f64 v[130:131], v[48:49], v[52:53]
	v_fma_f64 v[80:81], v[36:37], s[0:1], v[80:81]
	v_add_f64 v[136:137], v[46:47], v[50:51]
	v_add_f64 v[48:49], v[76:77], v[64:65]
	;; [unrolled: 1-line block ×14, first 2 shown]
	v_mul_u32_u24_e32 v32, 0x110, v70
	v_add_f64 v[56:57], v[84:85], v[120:121]
	v_add_f64 v[54:55], v[60:61], v[132:133]
	;; [unrolled: 1-line block ×8, first 2 shown]
	v_add3_u32 v32, 0, v32, v108
	ds_write_b128 v32, v[4:7]
	ds_write_b128 v32, v[46:49] offset:16
	ds_write_b128 v32, v[42:45] offset:32
	;; [unrolled: 1-line block ×16, first 2 shown]
.LBB0_21:
	s_or_b32 exec_lo, exec_lo, s33
	v_and_b32_e32 v0, 0xff, v70
	v_add_nc_u16 v18, v70, 0x66
	v_add_nc_u32_e32 v19, 0xcc, v70
	v_mov_b32_e32 v1, 0xf0f1
	v_add_nc_u32_e32 v3, 0x132, v70
	v_mul_lo_u16 v0, 0xf1, v0
	v_and_b32_e32 v23, 0xff, v18
	s_waitcnt lgkmcnt(0)
	v_mul_u32_u24_sdwa v2, v19, v1 dst_sel:DWORD dst_unused:UNUSED_PAD src0_sel:WORD_0 src1_sel:DWORD
	v_mul_u32_u24_sdwa v1, v3, v1 dst_sel:DWORD dst_unused:UNUSED_PAD src0_sel:WORD_0 src1_sel:DWORD
	v_lshrrev_b16 v98, 12, v0
	v_mul_lo_u16 v0, 0xf1, v23
	s_barrier
	v_lshrrev_b32_e32 v25, 20, v2
	v_lshrrev_b32_e32 v118, 20, v1
	v_mul_lo_u16 v2, v98, 17
	v_lshrrev_b16 v22, 12, v0
	v_mov_b32_e32 v0, 5
	v_mul_lo_u16 v4, v25, 17
	buffer_gl0_inv
	v_sub_nc_u16 v26, v70, v2
	v_mul_lo_u16 v2, v22, 17
	v_mov_b32_e32 v99, 0xa0a1
	v_sub_nc_u16 v27, v19, v4
	v_mul_lo_u16 v122, 0xa1, v23
	v_lshlrev_b32_sdwa v1, v0, v26 dst_sel:DWORD dst_unused:UNUSED_PAD src0_sel:DWORD src1_sel:BYTE_0
	v_sub_nc_u16 v20, v18, v2
	v_mul_lo_u16 v2, v118, 17
	v_lshlrev_b32_sdwa v4, v0, v27 dst_sel:DWORD dst_unused:UNUSED_PAD src0_sel:DWORD src1_sel:WORD_0
	v_mul_u32_u24_sdwa v99, v19, v99 dst_sel:DWORD dst_unused:UNUSED_PAD src0_sel:WORD_0 src1_sel:DWORD
	s_clause 0x1
	global_load_dwordx4 v[28:31], v1, s[12:13]
	global_load_dwordx4 v[32:35], v1, s[12:13] offset:16
	v_sub_nc_u16 v120, v3, v2
	v_lshlrev_b32_sdwa v5, v0, v20 dst_sel:DWORD dst_unused:UNUSED_PAD src0_sel:DWORD src1_sel:BYTE_0
	s_clause 0x3
	global_load_dwordx4 v[36:39], v4, s[12:13] offset:16
	global_load_dwordx4 v[40:43], v4, s[12:13]
	global_load_dwordx4 v[44:47], v5, s[12:13] offset:16
	global_load_dwordx4 v[48:51], v5, s[12:13]
	v_lshlrev_b32_sdwa v0, v0, v120 dst_sel:DWORD dst_unused:UNUSED_PAD src0_sel:DWORD src1_sel:WORD_0
	v_lshrrev_b32_e32 v23, 21, v99
	v_and_b32_e32 v123, 0xffff, v98
	s_clause 0x1
	global_load_dwordx4 v[52:55], v0, s[12:13]
	global_load_dwordx4 v[56:59], v0, s[12:13] offset:16
	ds_read_b128 v[12:15], v110
	ds_read_b128 v[0:3], v71 offset:1632
	ds_read_b128 v[60:63], v71 offset:6528
	;; [unrolled: 1-line block ×11, first 2 shown]
	v_subrev_nc_u32_e32 v16, 51, v70
	v_cmp_gt_u32_e64 s0, 51, v70
	v_mov_b32_e32 v21, 4
	v_mov_b32_e32 v17, 0
	v_mad_u32_u24 v124, 0x330, v25, 0
	v_mul_lo_u16 v25, v23, 51
	v_cndmask_b32_e64 v24, v16, v70, s0
	v_mad_u32_u24 v125, 0x330, v118, 0
	s_mov_b32 s4, 0xe8584caa
	s_mov_b32 s5, 0x3febb67a
	;; [unrolled: 1-line block ×3, first 2 shown]
	v_mul_i32_i24_e32 v16, 3, v24
	s_mov_b32 s6, s4
	v_and_b32_e32 v22, 0xffff, v22
	v_mov_b32_e32 v121, 3
	s_waitcnt vmcnt(0) lgkmcnt(0)
	v_lshlrev_b64 v[118:119], 4, v[16:17]
	v_lshrrev_b16 v16, 13, v122
	v_mad_u32_u24 v122, 0x330, v123, 0
	v_sub_nc_u16 v123, v19, v25
	v_lshlrev_b32_sdwa v19, v21, v26 dst_sel:DWORD dst_unused:UNUSED_PAD src0_sel:DWORD src1_sel:BYTE_0
	v_mad_u32_u24 v22, 0x330, v22, 0
	s_barrier
	buffer_gl0_inv
	v_mad_u32_u24 v23, 0xcc0, v23, 0
	v_mul_f64 v[98:99], v[62:63], v[30:31]
	v_mul_f64 v[100:101], v[76:77], v[34:35]
	;; [unrolled: 1-line block ×16, first 2 shown]
	v_fma_f64 v[60:61], v[60:61], v[28:29], -v[98:99]
	v_fma_f64 v[74:75], v[74:75], v[32:33], -v[100:101]
	v_fma_f64 v[28:29], v[62:63], v[28:29], v[30:31]
	v_fma_f64 v[30:31], v[76:77], v[32:33], v[34:35]
	v_fma_f64 v[32:33], v[82:83], v[40:41], -v[102:103]
	v_fma_f64 v[34:35], v[90:91], v[36:37], -v[104:105]
	;; [unrolled: 1-line block ×4, first 2 shown]
	v_fma_f64 v[48:49], v[66:67], v[48:49], v[50:51]
	v_fma_f64 v[44:45], v[80:81], v[44:45], v[46:47]
	v_fma_f64 v[40:41], v[84:85], v[40:41], v[42:43]
	v_fma_f64 v[36:37], v[92:93], v[36:37], v[38:39]
	v_fma_f64 v[38:39], v[86:87], v[52:53], -v[114:115]
	v_fma_f64 v[42:43], v[94:95], v[56:57], -v[116:117]
	v_fma_f64 v[46:47], v[88:89], v[52:53], v[54:55]
	v_fma_f64 v[50:51], v[96:97], v[56:57], v[58:59]
	v_lshlrev_b32_sdwa v113, v21, v27 dst_sel:DWORD dst_unused:UNUSED_PAD src0_sel:DWORD src1_sel:WORD_0
	v_mul_lo_u16 v112, v16, 51
	v_lshlrev_b32_sdwa v114, v21, v120 dst_sel:DWORD dst_unused:UNUSED_PAD src0_sel:DWORD src1_sel:WORD_0
	v_add_co_u32 v57, s0, s12, v118
	v_add_co_ci_u32_e64 v58, s0, s13, v119, s0
	v_add_f64 v[52:53], v[60:61], v[74:75]
	v_add_f64 v[78:79], v[12:13], v[60:61]
	;; [unrolled: 1-line block ×3, first 2 shown]
	v_add_f64 v[82:83], v[28:29], -v[30:31]
	v_add_f64 v[54:55], v[32:33], v[34:35]
	v_add_f64 v[27:28], v[14:15], v[28:29]
	;; [unrolled: 1-line block ×3, first 2 shown]
	v_add_f64 v[59:60], v[60:61], -v[74:75]
	v_add_f64 v[76:77], v[48:49], v[44:45]
	v_add_f64 v[96:97], v[0:1], v[62:63]
	;; [unrolled: 1-line block ×9, first 2 shown]
	v_add_f64 v[40:41], v[40:41], -v[36:37]
	v_add_f64 v[48:49], v[48:49], -v[44:45]
	;; [unrolled: 1-line block ×4, first 2 shown]
	v_add_f64 v[94:95], v[6:7], v[46:47]
	v_fma_f64 v[52:53], v[52:53], -0.5, v[12:13]
	v_add_f64 v[104:105], v[46:47], -v[50:51]
	v_fma_f64 v[100:101], v[25:26], -0.5, v[14:15]
	v_add_f64 v[106:107], v[38:39], -v[42:43]
	v_fma_f64 v[54:55], v[54:55], -0.5, v[8:9]
	v_sub_nc_u16 v120, v18, v112
	v_fma_f64 v[66:67], v[66:67], -0.5, v[0:1]
	v_add_f64 v[0:1], v[78:79], v[74:75]
	v_fma_f64 v[76:77], v[76:77], -0.5, v[2:3]
	v_add_f64 v[2:3], v[27:28], v[30:31]
	;; [unrolled: 2-line block ×5, first 2 shown]
	v_add_f64 v[6:7], v[90:91], v[36:37]
	v_add_f64 v[8:9], v[92:93], v[42:43]
	v_add3_u32 v18, v122, v19, v108
	v_lshlrev_b32_sdwa v19, v21, v20 dst_sel:DWORD dst_unused:UNUSED_PAD src0_sel:DWORD src1_sel:BYTE_0
	v_add3_u32 v20, v124, v113, v108
	v_add_f64 v[10:11], v[94:95], v[50:51]
	v_fma_f64 v[25:26], v[82:83], s[4:5], v[52:53]
	v_fma_f64 v[29:30], v[82:83], s[6:7], v[52:53]
	;; [unrolled: 1-line block ×16, first 2 shown]
	v_mul_u32_u24_sdwa v60, v120, v121 dst_sel:DWORD dst_unused:UNUSED_PAD src0_sel:BYTE_0 src1_sel:DWORD
	v_add3_u32 v19, v22, v19, v108
	v_add3_u32 v59, v125, v114, v108
	v_cmp_lt_u32_e64 s0, 50, v70
	v_and_b32_e32 v16, 0xffff, v16
	ds_write_b128 v18, v[0:3]
	ds_write_b128 v18, v[25:28] offset:272
	ds_write_b128 v18, v[29:32] offset:544
	ds_write_b128 v19, v[12:15]
	ds_write_b128 v19, v[41:44] offset:272
	ds_write_b128 v19, v[45:48] offset:544
	ds_write_b128 v20, v[4:7]
	ds_write_b128 v20, v[33:36] offset:272
	ds_write_b128 v20, v[37:40] offset:544
	ds_write_b128 v59, v[8:11]
	ds_write_b128 v59, v[49:52] offset:272
	ds_write_b128 v59, v[53:56] offset:544
	v_mul_u32_u24_sdwa v19, v123, v121 dst_sel:DWORD dst_unused:UNUSED_PAD src0_sel:WORD_0 src1_sel:DWORD
	v_lshlrev_b32_e32 v18, 4, v60
	s_waitcnt lgkmcnt(0)
	s_barrier
	buffer_gl0_inv
	s_clause 0x3
	global_load_dwordx4 v[0:3], v[57:58], off offset:560
	global_load_dwordx4 v[4:7], v[57:58], off offset:544
	;; [unrolled: 1-line block ×3, first 2 shown]
	global_load_dwordx4 v[12:15], v18, s[12:13] offset:544
	v_lshlrev_b32_e32 v19, 4, v19
	s_clause 0x4
	global_load_dwordx4 v[25:28], v18, s[12:13] offset:560
	global_load_dwordx4 v[29:32], v18, s[12:13] offset:576
	;; [unrolled: 1-line block ×5, first 2 shown]
	ds_read_b128 v[45:48], v71 offset:4896
	ds_read_b128 v[49:52], v71 offset:9792
	;; [unrolled: 1-line block ×10, first 2 shown]
	ds_read_b128 v[94:97], v110
	ds_read_b128 v[98:101], v71 offset:1632
	v_mad_u32_u24 v16, 0xcc0, v16, 0
	s_waitcnt vmcnt(0) lgkmcnt(0)
	s_barrier
	buffer_gl0_inv
	v_mul_f64 v[65:66], v[51:52], v[2:3]
	v_mul_f64 v[18:19], v[47:48], v[6:7]
	;; [unrolled: 1-line block ×18, first 2 shown]
	v_fma_f64 v[18:19], v[45:46], v[4:5], -v[18:19]
	v_fma_f64 v[4:5], v[47:48], v[4:5], v[6:7]
	v_fma_f64 v[6:7], v[49:50], v[0:1], -v[65:66]
	v_fma_f64 v[0:1], v[51:52], v[0:1], v[2:3]
	;; [unrolled: 2-line block ×9, first 2 shown]
	v_add_f64 v[43:44], v[94:95], -v[6:7]
	v_add_f64 v[45:46], v[96:97], -v[0:1]
	;; [unrolled: 1-line block ×12, first 2 shown]
	v_fma_f64 v[38:39], v[94:95], 2.0, -v[43:44]
	v_fma_f64 v[53:54], v[96:97], 2.0, -v[45:46]
	;; [unrolled: 1-line block ×4, first 2 shown]
	v_cndmask_b32_e64 v4, 0, 0xcc0, s0
	v_mul_u32_u24_e32 v5, 5, v70
	v_fma_f64 v[58:59], v[98:99], 2.0, -v[47:48]
	v_fma_f64 v[60:61], v[100:101], 2.0, -v[49:50]
	;; [unrolled: 1-line block ×4, first 2 shown]
	v_add_f64 v[0:1], v[43:44], -v[0:1]
	v_add_f64 v[2:3], v[45:46], v[2:3]
	v_fma_f64 v[62:63], v[90:91], 2.0, -v[51:52]
	v_fma_f64 v[64:65], v[92:93], 2.0, -v[56:57]
	;; [unrolled: 1-line block ×4, first 2 shown]
	v_add_nc_u32_e32 v20, 0, v4
	v_lshlrev_b32_e32 v22, 4, v5
	v_add_f64 v[4:5], v[47:48], -v[8:9]
	v_add_f64 v[6:7], v[49:50], v[6:7]
	v_lshlrev_b32_e32 v34, 4, v24
	v_add_f64 v[24:25], v[51:52], -v[28:29]
	v_add_f64 v[26:27], v[56:57], v[26:27]
	v_add_co_u32 v22, s0, s12, v22
	v_add_f64 v[8:9], v[38:39], -v[14:15]
	v_add_f64 v[10:11], v[53:54], -v[18:19]
	v_add3_u32 v20, v20, v34, v108
	v_add_co_ci_u32_e64 v74, null, s13, 0, s0
	v_add_f64 v[12:13], v[58:59], -v[35:36]
	v_add_f64 v[14:15], v[60:61], -v[40:41]
	v_add_co_u32 v66, s0, 0xbb0, v22
	v_fma_f64 v[34:35], v[45:46], 2.0, -v[2:3]
	v_add_co_ci_u32_e64 v67, s0, 0, v74, s0
	v_add_f64 v[28:29], v[62:63], -v[30:31]
	v_add_f64 v[30:31], v[64:65], -v[32:33]
	v_fma_f64 v[32:33], v[43:44], 2.0, -v[0:1]
	v_fma_f64 v[36:37], v[47:48], 2.0, -v[4:5]
	v_add_co_u32 v18, s0, 0x800, v22
	v_add_co_ci_u32_e64 v19, s0, 0, v74, s0
	v_fma_f64 v[40:41], v[38:39], 2.0, -v[8:9]
	v_fma_f64 v[42:43], v[53:54], 2.0, -v[10:11]
	;; [unrolled: 1-line block ×7, first 2 shown]
	v_lshlrev_b32_sdwa v56, v21, v123 dst_sel:DWORD dst_unused:UNUSED_PAD src0_sel:DWORD src1_sel:WORD_0
	v_lshlrev_b32_sdwa v21, v21, v120 dst_sel:DWORD dst_unused:UNUSED_PAD src0_sel:DWORD src1_sel:BYTE_0
	v_fma_f64 v[52:53], v[62:63], 2.0, -v[28:29]
	v_fma_f64 v[54:55], v[64:65], 2.0, -v[30:31]
	v_add3_u32 v16, v16, v21, v108
	v_add3_u32 v23, v23, v56, v108
	ds_write_b128 v20, v[0:3] offset:2448
	ds_write_b128 v20, v[32:35] offset:816
	;; [unrolled: 1-line block ×3, first 2 shown]
	ds_write_b128 v20, v[40:43]
	ds_write_b128 v16, v[44:47]
	ds_write_b128 v16, v[36:39] offset:816
	ds_write_b128 v16, v[12:15] offset:1632
	;; [unrolled: 1-line block ×3, first 2 shown]
	ds_write_b128 v23, v[52:55]
	ds_write_b128 v23, v[48:51] offset:816
	ds_write_b128 v23, v[28:31] offset:1632
	;; [unrolled: 1-line block ×3, first 2 shown]
	s_waitcnt lgkmcnt(0)
	s_barrier
	buffer_gl0_inv
	s_clause 0x1
	global_load_dwordx4 v[0:3], v[66:67], off offset:32
	global_load_dwordx4 v[4:7], v[18:19], off offset:1008
	v_add_co_u32 v38, s0, 0x2b90, v22
	v_add_co_ci_u32_e64 v39, s0, 0, v74, s0
	v_add_co_u32 v22, s0, 0x2800, v22
	v_add_co_ci_u32_e64 v23, s0, 0, v74, s0
	s_clause 0x7
	global_load_dwordx4 v[8:11], v[38:39], off offset:32
	global_load_dwordx4 v[12:15], v[22:23], off offset:976
	;; [unrolled: 1-line block ×8, first 2 shown]
	ds_read_b128 v[42:45], v71 offset:9792
	ds_read_b128 v[46:49], v71 offset:16320
	ds_read_b128 v[50:53], v71 offset:11424
	ds_read_b128 v[54:57], v71 offset:17952
	ds_read_b128 v[58:61], v71 offset:3264
	ds_read_b128 v[62:65], v71 offset:4896
	ds_read_b128 v[74:77], v71 offset:13056
	ds_read_b128 v[78:81], v71 offset:6528
	v_add_nc_u32_e32 v16, v111, v108
	s_waitcnt vmcnt(9) lgkmcnt(7)
	v_mul_f64 v[66:67], v[44:45], v[2:3]
	v_mul_f64 v[2:3], v[42:43], v[2:3]
	s_waitcnt vmcnt(8) lgkmcnt(6)
	v_mul_f64 v[82:83], v[46:47], v[6:7]
	v_mul_f64 v[6:7], v[48:49], v[6:7]
	;; [unrolled: 3-line block ×5, first 2 shown]
	v_fma_f64 v[42:43], v[42:43], v[0:1], -v[66:67]
	v_fma_f64 v[44:45], v[44:45], v[0:1], v[2:3]
	v_fma_f64 v[48:49], v[48:49], v[4:5], v[82:83]
	v_fma_f64 v[46:47], v[46:47], v[4:5], -v[6:7]
	s_waitcnt vmcnt(4) lgkmcnt(2)
	v_mul_f64 v[66:67], v[64:65], v[24:25]
	v_mul_f64 v[24:25], v[62:63], v[24:25]
	v_fma_f64 v[50:51], v[50:51], v[8:9], -v[84:85]
	v_fma_f64 v[52:53], v[52:53], v[8:9], v[10:11]
	v_fma_f64 v[56:57], v[56:57], v[12:13], v[86:87]
	v_fma_f64 v[12:13], v[54:55], v[12:13], -v[14:15]
	ds_read_b128 v[0:3], v71 offset:8160
	ds_read_b128 v[4:7], v71 offset:14688
	s_waitcnt vmcnt(3) lgkmcnt(2)
	v_mul_f64 v[8:9], v[80:81], v[28:29]
	v_mul_f64 v[10:11], v[78:79], v[28:29]
	s_waitcnt vmcnt(2)
	v_mul_f64 v[14:15], v[76:77], v[32:33]
	v_mul_f64 v[28:29], v[74:75], v[32:33]
	v_fma_f64 v[32:33], v[58:59], v[18:19], -v[88:89]
	v_fma_f64 v[18:19], v[60:61], v[18:19], v[20:21]
	v_add_f64 v[20:21], v[44:45], v[48:49]
	v_add_f64 v[54:55], v[42:43], v[46:47]
	v_fma_f64 v[62:63], v[62:63], v[22:23], -v[66:67]
	v_fma_f64 v[22:23], v[64:65], v[22:23], v[24:25]
	s_waitcnt vmcnt(1) lgkmcnt(1)
	v_mul_f64 v[58:59], v[2:3], v[36:37]
	v_mul_f64 v[36:37], v[0:1], v[36:37]
	s_waitcnt vmcnt(0) lgkmcnt(0)
	v_mul_f64 v[60:61], v[6:7], v[40:41]
	v_mul_f64 v[40:41], v[4:5], v[40:41]
	v_add_f64 v[24:25], v[52:53], v[56:57]
	v_add_f64 v[64:65], v[50:51], v[12:13]
	v_fma_f64 v[66:67], v[78:79], v[26:27], -v[8:9]
	v_fma_f64 v[26:27], v[80:81], v[26:27], v[10:11]
	v_fma_f64 v[14:15], v[74:75], v[30:31], -v[14:15]
	v_fma_f64 v[28:29], v[76:77], v[30:31], v[28:29]
	v_add_f64 v[30:31], v[44:45], -v[48:49]
	v_add_f64 v[74:75], v[42:43], -v[46:47]
	ds_read_b128 v[8:11], v110
	v_fma_f64 v[20:21], v[20:21], -0.5, v[18:19]
	v_fma_f64 v[54:55], v[54:55], -0.5, v[32:33]
	v_add_f64 v[32:33], v[32:33], v[42:43]
	v_add_f64 v[18:19], v[18:19], v[44:45]
	;; [unrolled: 1-line block ×3, first 2 shown]
	v_fma_f64 v[58:59], v[0:1], v[34:35], -v[58:59]
	v_fma_f64 v[34:35], v[2:3], v[34:35], v[36:37]
	ds_read_b128 v[0:3], v71 offset:1632
	v_fma_f64 v[4:5], v[4:5], v[38:39], -v[60:61]
	v_fma_f64 v[6:7], v[6:7], v[38:39], v[40:41]
	v_add_f64 v[36:37], v[52:53], -v[56:57]
	v_add_f64 v[38:39], v[50:51], -v[12:13]
	v_fma_f64 v[24:25], v[24:25], -0.5, v[22:23]
	v_fma_f64 v[40:41], v[64:65], -0.5, v[62:63]
	v_add_f64 v[60:61], v[66:67], v[14:15]
	v_add_f64 v[76:77], v[26:27], v[28:29]
	v_add_f64 v[78:79], v[26:27], -v[28:29]
	s_waitcnt lgkmcnt(1)
	v_add_f64 v[26:27], v[10:11], v[26:27]
	v_add_f64 v[64:65], v[8:9], v[66:67]
	v_add_f64 v[22:23], v[22:23], v[52:53]
	v_add_f64 v[66:67], v[66:67], -v[14:15]
	s_waitcnt lgkmcnt(0)
	v_fma_f64 v[80:81], v[74:75], s[6:7], v[20:21]
	v_fma_f64 v[82:83], v[30:31], s[6:7], v[54:55]
	;; [unrolled: 1-line block ×4, first 2 shown]
	v_add_f64 v[32:33], v[32:33], v[46:47]
	v_add_f64 v[18:19], v[18:19], v[48:49]
	v_add_f64 v[12:13], v[42:43], v[12:13]
	s_barrier
	v_add_f64 v[54:55], v[58:59], v[4:5]
	v_add_f64 v[74:75], v[34:35], v[6:7]
	v_add_f64 v[44:45], v[58:59], -v[4:5]
	buffer_gl0_inv
	v_fma_f64 v[84:85], v[38:39], s[6:7], v[24:25]
	v_fma_f64 v[86:87], v[36:37], s[6:7], v[40:41]
	;; [unrolled: 1-line block ×4, first 2 shown]
	v_add_f64 v[38:39], v[0:1], v[58:59]
	v_add_f64 v[40:41], v[2:3], v[34:35]
	v_fma_f64 v[8:9], v[60:61], -0.5, v[8:9]
	v_fma_f64 v[10:11], v[76:77], -0.5, v[10:11]
	v_add_f64 v[34:35], v[34:35], -v[6:7]
	v_add_f64 v[26:27], v[26:27], v[28:29]
	v_mul_f64 v[50:51], v[80:81], s[4:5]
	v_mul_f64 v[52:53], v[82:83], -0.5
	v_mul_f64 v[58:59], v[30:31], s[6:7]
	v_mul_f64 v[60:61], v[20:21], -0.5
	v_add_f64 v[14:15], v[64:65], v[14:15]
	v_add_f64 v[22:23], v[22:23], v[56:57]
	v_fma_f64 v[0:1], v[54:55], -0.5, v[0:1]
	v_fma_f64 v[2:3], v[74:75], -0.5, v[2:3]
	v_mul_f64 v[28:29], v[84:85], s[4:5]
	v_mul_f64 v[54:55], v[86:87], -0.5
	v_mul_f64 v[62:63], v[36:37], s[6:7]
	v_mul_f64 v[64:65], v[24:25], -0.5
	v_add_f64 v[38:39], v[38:39], v[4:5]
	v_add_f64 v[40:41], v[40:41], v[6:7]
	v_fma_f64 v[42:43], v[78:79], s[4:5], v[8:9]
	v_fma_f64 v[48:49], v[66:67], s[6:7], v[10:11]
	;; [unrolled: 1-line block ×4, first 2 shown]
	v_fma_f64 v[30:31], v[30:31], 0.5, v[50:51]
	v_fma_f64 v[50:51], v[20:21], s[4:5], v[52:53]
	v_fma_f64 v[52:53], v[80:81], 0.5, v[58:59]
	v_fma_f64 v[58:59], v[82:83], s[6:7], v[60:61]
	v_add_f64 v[4:5], v[14:15], -v[32:33]
	v_add_f64 v[6:7], v[26:27], -v[18:19]
	v_fma_f64 v[60:61], v[34:35], s[4:5], v[0:1]
	v_fma_f64 v[74:75], v[44:45], s[6:7], v[2:3]
	;; [unrolled: 1-line block ×4, first 2 shown]
	v_fma_f64 v[44:45], v[36:37], 0.5, v[28:29]
	v_fma_f64 v[54:55], v[24:25], s[4:5], v[54:55]
	v_fma_f64 v[62:63], v[84:85], 0.5, v[62:63]
	v_fma_f64 v[64:65], v[86:87], s[6:7], v[64:65]
	v_add_f64 v[0:1], v[14:15], v[32:33]
	v_add_f64 v[2:3], v[26:27], v[18:19]
	;; [unrolled: 1-line block ×4, first 2 shown]
	v_add_f64 v[12:13], v[38:39], -v[12:13]
	v_add_f64 v[14:15], v[40:41], -v[22:23]
	v_add_f64 v[18:19], v[42:43], v[30:31]
	v_add_f64 v[22:23], v[46:47], v[50:51]
	;; [unrolled: 1-line block ×4, first 2 shown]
	v_add_f64 v[26:27], v[42:43], -v[30:31]
	v_add_f64 v[28:29], v[48:49], -v[52:53]
	;; [unrolled: 1-line block ×4, first 2 shown]
	v_add_f64 v[34:35], v[60:61], v[44:45]
	v_add_f64 v[38:39], v[66:67], v[54:55]
	;; [unrolled: 1-line block ×4, first 2 shown]
	v_add_f64 v[42:43], v[60:61], -v[44:45]
	v_add_f64 v[44:45], v[74:75], -v[62:63]
	;; [unrolled: 1-line block ×4, first 2 shown]
	ds_write_b128 v71, v[0:3]
	ds_write_b128 v71, v[4:7] offset:9792
	ds_write_b128 v71, v[8:11] offset:1632
	;; [unrolled: 1-line block ×11, first 2 shown]
	s_waitcnt lgkmcnt(0)
	s_barrier
	buffer_gl0_inv
	s_and_saveexec_b32 s0, vcc_lo
	s_cbranch_execz .LBB0_23
; %bb.22:
	v_mul_lo_u32 v2, s3, v72
	v_mul_lo_u32 v3, s2, v73
	v_mad_u64_u32 v[0:1], null, s2, v72, 0
	v_lshl_add_u32 v28, v70, 4, v109
	v_mov_b32_e32 v71, v17
	v_lshlrev_b64 v[8:9], 4, v[68:69]
	v_add_nc_u32_e32 v16, 0x66, v70
	v_add3_u32 v1, v1, v3, v2
	v_lshlrev_b64 v[12:13], 4, v[70:71]
	v_lshlrev_b64 v[18:19], 4, v[16:17]
	v_add_nc_u32_e32 v16, 0xcc, v70
	v_lshlrev_b64 v[10:11], 4, v[0:1]
	ds_read_b128 v[0:3], v28
	ds_read_b128 v[4:7], v28 offset:1632
	v_lshlrev_b64 v[22:23], 4, v[16:17]
	v_add_nc_u32_e32 v16, 0x132, v70
	v_add_co_u32 v10, vcc_lo, s10, v10
	v_add_co_ci_u32_e32 v11, vcc_lo, s11, v11, vcc_lo
	v_add_co_u32 v30, vcc_lo, v10, v8
	v_add_co_ci_u32_e32 v31, vcc_lo, v11, v9, vcc_lo
	;; [unrolled: 2-line block ×3, first 2 shown]
	ds_read_b128 v[8:11], v28 offset:3264
	ds_read_b128 v[12:15], v28 offset:4896
	s_waitcnt lgkmcnt(3)
	global_store_dwordx4 v[20:21], v[0:3], off
	v_add_co_u32 v0, vcc_lo, v30, v18
	v_lshlrev_b64 v[2:3], 4, v[16:17]
	v_add_co_ci_u32_e32 v1, vcc_lo, v31, v19, vcc_lo
	v_add_co_u32 v18, vcc_lo, v30, v22
	v_add_co_ci_u32_e32 v19, vcc_lo, v31, v23, vcc_lo
	v_add_co_u32 v2, vcc_lo, v30, v2
	v_add_nc_u32_e32 v16, 0x198, v70
	v_add_co_ci_u32_e32 v3, vcc_lo, v31, v3, vcc_lo
	s_waitcnt lgkmcnt(2)
	global_store_dwordx4 v[0:1], v[4:7], off
	s_waitcnt lgkmcnt(1)
	global_store_dwordx4 v[18:19], v[8:11], off
	;; [unrolled: 2-line block ×3, first 2 shown]
	v_lshlrev_b64 v[20:21], 4, v[16:17]
	v_add_nc_u32_e32 v16, 0x1fe, v70
	ds_read_b128 v[0:3], v28 offset:6528
	ds_read_b128 v[4:7], v28 offset:8160
	;; [unrolled: 1-line block ×3, first 2 shown]
	v_lshlrev_b64 v[12:13], 4, v[16:17]
	v_add_nc_u32_e32 v16, 0x264, v70
	v_add_co_u32 v14, vcc_lo, v30, v20
	v_add_co_ci_u32_e32 v15, vcc_lo, v31, v21, vcc_lo
	v_lshlrev_b64 v[18:19], 4, v[16:17]
	v_add_nc_u32_e32 v16, 0x2ca, v70
	v_add_co_u32 v12, vcc_lo, v30, v12
	v_add_co_ci_u32_e32 v13, vcc_lo, v31, v13, vcc_lo
	v_lshlrev_b64 v[20:21], 4, v[16:17]
	v_add_nc_u32_e32 v16, 0x330, v70
	v_add_co_u32 v18, vcc_lo, v30, v18
	s_waitcnt lgkmcnt(2)
	global_store_dwordx4 v[14:15], v[0:3], off
	s_waitcnt lgkmcnt(1)
	global_store_dwordx4 v[12:13], v[4:7], off
	v_add_co_ci_u32_e32 v19, vcc_lo, v31, v19, vcc_lo
	v_lshlrev_b64 v[4:5], 4, v[16:17]
	v_add_co_u32 v22, vcc_lo, v30, v20
	v_add_nc_u32_e32 v16, 0x396, v70
	v_add_co_ci_u32_e32 v23, vcc_lo, v31, v21, vcc_lo
	v_add_co_u32 v24, vcc_lo, v30, v4
	s_waitcnt lgkmcnt(0)
	global_store_dwordx4 v[18:19], v[8:11], off
	ds_read_b128 v[0:3], v28 offset:11424
	v_add_co_ci_u32_e32 v25, vcc_lo, v31, v5, vcc_lo
	ds_read_b128 v[4:7], v28 offset:13056
	ds_read_b128 v[8:11], v28 offset:14688
	;; [unrolled: 1-line block ×4, first 2 shown]
	v_lshlrev_b64 v[26:27], 4, v[16:17]
	v_add_nc_u32_e32 v16, 0x3fc, v70
	v_lshlrev_b64 v[28:29], 4, v[16:17]
	v_add_nc_u32_e32 v16, 0x462, v70
	v_add_co_u32 v26, vcc_lo, v30, v26
	v_add_co_ci_u32_e32 v27, vcc_lo, v31, v27, vcc_lo
	v_lshlrev_b64 v[16:17], 4, v[16:17]
	v_add_co_u32 v28, vcc_lo, v30, v28
	v_add_co_ci_u32_e32 v29, vcc_lo, v31, v29, vcc_lo
	v_add_co_u32 v16, vcc_lo, v30, v16
	v_add_co_ci_u32_e32 v17, vcc_lo, v31, v17, vcc_lo
	s_waitcnt lgkmcnt(4)
	global_store_dwordx4 v[22:23], v[0:3], off
	s_waitcnt lgkmcnt(3)
	global_store_dwordx4 v[24:25], v[4:7], off
	s_waitcnt lgkmcnt(2)
	global_store_dwordx4 v[26:27], v[8:11], off
	s_waitcnt lgkmcnt(1)
	global_store_dwordx4 v[28:29], v[12:15], off
	s_waitcnt lgkmcnt(0)
	global_store_dwordx4 v[16:17], v[18:21], off
.LBB0_23:
	s_endpgm
	.section	.rodata,"a",@progbits
	.p2align	6, 0x0
	.amdhsa_kernel fft_rtc_fwd_len1224_factors_17_3_4_6_wgs_204_tpt_102_halfLds_dp_op_CI_CI_unitstride_sbrr_C2R_dirReg
		.amdhsa_group_segment_fixed_size 0
		.amdhsa_private_segment_fixed_size 0
		.amdhsa_kernarg_size 104
		.amdhsa_user_sgpr_count 6
		.amdhsa_user_sgpr_private_segment_buffer 1
		.amdhsa_user_sgpr_dispatch_ptr 0
		.amdhsa_user_sgpr_queue_ptr 0
		.amdhsa_user_sgpr_kernarg_segment_ptr 1
		.amdhsa_user_sgpr_dispatch_id 0
		.amdhsa_user_sgpr_flat_scratch_init 0
		.amdhsa_user_sgpr_private_segment_size 0
		.amdhsa_wavefront_size32 1
		.amdhsa_uses_dynamic_stack 0
		.amdhsa_system_sgpr_private_segment_wavefront_offset 0
		.amdhsa_system_sgpr_workgroup_id_x 1
		.amdhsa_system_sgpr_workgroup_id_y 0
		.amdhsa_system_sgpr_workgroup_id_z 0
		.amdhsa_system_sgpr_workgroup_info 0
		.amdhsa_system_vgpr_workitem_id 0
		.amdhsa_next_free_vgpr 166
		.amdhsa_next_free_sgpr 56
		.amdhsa_reserve_vcc 1
		.amdhsa_reserve_flat_scratch 0
		.amdhsa_float_round_mode_32 0
		.amdhsa_float_round_mode_16_64 0
		.amdhsa_float_denorm_mode_32 3
		.amdhsa_float_denorm_mode_16_64 3
		.amdhsa_dx10_clamp 1
		.amdhsa_ieee_mode 1
		.amdhsa_fp16_overflow 0
		.amdhsa_workgroup_processor_mode 1
		.amdhsa_memory_ordered 1
		.amdhsa_forward_progress 0
		.amdhsa_shared_vgpr_count 0
		.amdhsa_exception_fp_ieee_invalid_op 0
		.amdhsa_exception_fp_denorm_src 0
		.amdhsa_exception_fp_ieee_div_zero 0
		.amdhsa_exception_fp_ieee_overflow 0
		.amdhsa_exception_fp_ieee_underflow 0
		.amdhsa_exception_fp_ieee_inexact 0
		.amdhsa_exception_int_div_zero 0
	.end_amdhsa_kernel
	.text
.Lfunc_end0:
	.size	fft_rtc_fwd_len1224_factors_17_3_4_6_wgs_204_tpt_102_halfLds_dp_op_CI_CI_unitstride_sbrr_C2R_dirReg, .Lfunc_end0-fft_rtc_fwd_len1224_factors_17_3_4_6_wgs_204_tpt_102_halfLds_dp_op_CI_CI_unitstride_sbrr_C2R_dirReg
                                        ; -- End function
	.section	.AMDGPU.csdata,"",@progbits
; Kernel info:
; codeLenInByte = 14184
; NumSgprs: 58
; NumVgprs: 166
; ScratchSize: 0
; MemoryBound: 0
; FloatMode: 240
; IeeeMode: 1
; LDSByteSize: 0 bytes/workgroup (compile time only)
; SGPRBlocks: 7
; VGPRBlocks: 20
; NumSGPRsForWavesPerEU: 58
; NumVGPRsForWavesPerEU: 166
; Occupancy: 5
; WaveLimiterHint : 1
; COMPUTE_PGM_RSRC2:SCRATCH_EN: 0
; COMPUTE_PGM_RSRC2:USER_SGPR: 6
; COMPUTE_PGM_RSRC2:TRAP_HANDLER: 0
; COMPUTE_PGM_RSRC2:TGID_X_EN: 1
; COMPUTE_PGM_RSRC2:TGID_Y_EN: 0
; COMPUTE_PGM_RSRC2:TGID_Z_EN: 0
; COMPUTE_PGM_RSRC2:TIDIG_COMP_CNT: 0
	.text
	.p2alignl 6, 3214868480
	.fill 48, 4, 3214868480
	.type	__hip_cuid_83885ab053486953,@object ; @__hip_cuid_83885ab053486953
	.section	.bss,"aw",@nobits
	.globl	__hip_cuid_83885ab053486953
__hip_cuid_83885ab053486953:
	.byte	0                               ; 0x0
	.size	__hip_cuid_83885ab053486953, 1

	.ident	"AMD clang version 19.0.0git (https://github.com/RadeonOpenCompute/llvm-project roc-6.4.0 25133 c7fe45cf4b819c5991fe208aaa96edf142730f1d)"
	.section	".note.GNU-stack","",@progbits
	.addrsig
	.addrsig_sym __hip_cuid_83885ab053486953
	.amdgpu_metadata
---
amdhsa.kernels:
  - .args:
      - .actual_access:  read_only
        .address_space:  global
        .offset:         0
        .size:           8
        .value_kind:     global_buffer
      - .offset:         8
        .size:           8
        .value_kind:     by_value
      - .actual_access:  read_only
        .address_space:  global
        .offset:         16
        .size:           8
        .value_kind:     global_buffer
      - .actual_access:  read_only
        .address_space:  global
        .offset:         24
        .size:           8
        .value_kind:     global_buffer
      - .actual_access:  read_only
        .address_space:  global
        .offset:         32
        .size:           8
        .value_kind:     global_buffer
      - .offset:         40
        .size:           8
        .value_kind:     by_value
      - .actual_access:  read_only
        .address_space:  global
        .offset:         48
        .size:           8
        .value_kind:     global_buffer
      - .actual_access:  read_only
        .address_space:  global
        .offset:         56
        .size:           8
        .value_kind:     global_buffer
      - .offset:         64
        .size:           4
        .value_kind:     by_value
      - .actual_access:  read_only
        .address_space:  global
        .offset:         72
        .size:           8
        .value_kind:     global_buffer
      - .actual_access:  read_only
        .address_space:  global
        .offset:         80
        .size:           8
        .value_kind:     global_buffer
      - .actual_access:  read_only
        .address_space:  global
        .offset:         88
        .size:           8
        .value_kind:     global_buffer
      - .actual_access:  write_only
        .address_space:  global
        .offset:         96
        .size:           8
        .value_kind:     global_buffer
    .group_segment_fixed_size: 0
    .kernarg_segment_align: 8
    .kernarg_segment_size: 104
    .language:       OpenCL C
    .language_version:
      - 2
      - 0
    .max_flat_workgroup_size: 204
    .name:           fft_rtc_fwd_len1224_factors_17_3_4_6_wgs_204_tpt_102_halfLds_dp_op_CI_CI_unitstride_sbrr_C2R_dirReg
    .private_segment_fixed_size: 0
    .sgpr_count:     58
    .sgpr_spill_count: 0
    .symbol:         fft_rtc_fwd_len1224_factors_17_3_4_6_wgs_204_tpt_102_halfLds_dp_op_CI_CI_unitstride_sbrr_C2R_dirReg.kd
    .uniform_work_group_size: 1
    .uses_dynamic_stack: false
    .vgpr_count:     166
    .vgpr_spill_count: 0
    .wavefront_size: 32
    .workgroup_processor_mode: 1
amdhsa.target:   amdgcn-amd-amdhsa--gfx1030
amdhsa.version:
  - 1
  - 2
...

	.end_amdgpu_metadata
